;; amdgpu-corpus repo=ROCm/rocFFT kind=compiled arch=gfx906 opt=O3
	.text
	.amdgcn_target "amdgcn-amd-amdhsa--gfx906"
	.amdhsa_code_object_version 6
	.protected	fft_rtc_fwd_len1352_factors_2_13_13_4_wgs_52_tpt_52_halfLds_half_ip_CI_sbrr_dirReg ; -- Begin function fft_rtc_fwd_len1352_factors_2_13_13_4_wgs_52_tpt_52_halfLds_half_ip_CI_sbrr_dirReg
	.globl	fft_rtc_fwd_len1352_factors_2_13_13_4_wgs_52_tpt_52_halfLds_half_ip_CI_sbrr_dirReg
	.p2align	8
	.type	fft_rtc_fwd_len1352_factors_2_13_13_4_wgs_52_tpt_52_halfLds_half_ip_CI_sbrr_dirReg,@function
fft_rtc_fwd_len1352_factors_2_13_13_4_wgs_52_tpt_52_halfLds_half_ip_CI_sbrr_dirReg: ; @fft_rtc_fwd_len1352_factors_2_13_13_4_wgs_52_tpt_52_halfLds_half_ip_CI_sbrr_dirReg
; %bb.0:
	s_load_dwordx2 s[2:3], s[4:5], 0x18
	s_load_dwordx4 s[8:11], s[4:5], 0x0
	s_load_dwordx2 s[14:15], s[4:5], 0x50
	v_mul_u32_u24_e32 v1, 0x4ed, v0
	v_add_u32_sdwa v5, s6, v1 dst_sel:DWORD dst_unused:UNUSED_PAD src0_sel:DWORD src1_sel:WORD_1
	s_waitcnt lgkmcnt(0)
	s_load_dwordx2 s[12:13], s[2:3], 0x0
	v_cmp_lt_u64_e64 s[0:1], s[10:11], 2
	v_mov_b32_e32 v3, 0
	v_mov_b32_e32 v1, 0
	;; [unrolled: 1-line block ×3, first 2 shown]
	s_and_b64 vcc, exec, s[0:1]
	v_mov_b32_e32 v2, 0
	s_cbranch_vccnz .LBB0_8
; %bb.1:
	s_load_dwordx2 s[0:1], s[4:5], 0x10
	s_add_u32 s6, s2, 8
	s_addc_u32 s7, s3, 0
	v_mov_b32_e32 v1, 0
	v_mov_b32_e32 v2, 0
	s_waitcnt lgkmcnt(0)
	s_add_u32 s16, s0, 8
	s_addc_u32 s17, s1, 0
	s_mov_b64 s[18:19], 1
.LBB0_2:                                ; =>This Inner Loop Header: Depth=1
	s_load_dwordx2 s[20:21], s[16:17], 0x0
                                        ; implicit-def: $vgpr7_vgpr8
	s_waitcnt lgkmcnt(0)
	v_or_b32_e32 v4, s21, v6
	v_cmp_ne_u64_e32 vcc, 0, v[3:4]
	s_and_saveexec_b64 s[0:1], vcc
	s_xor_b64 s[22:23], exec, s[0:1]
	s_cbranch_execz .LBB0_4
; %bb.3:                                ;   in Loop: Header=BB0_2 Depth=1
	v_cvt_f32_u32_e32 v4, s20
	v_cvt_f32_u32_e32 v7, s21
	s_sub_u32 s0, 0, s20
	s_subb_u32 s1, 0, s21
	v_mac_f32_e32 v4, 0x4f800000, v7
	v_rcp_f32_e32 v4, v4
	v_mul_f32_e32 v4, 0x5f7ffffc, v4
	v_mul_f32_e32 v7, 0x2f800000, v4
	v_trunc_f32_e32 v7, v7
	v_mac_f32_e32 v4, 0xcf800000, v7
	v_cvt_u32_f32_e32 v7, v7
	v_cvt_u32_f32_e32 v4, v4
	v_mul_lo_u32 v8, s0, v7
	v_mul_hi_u32 v9, s0, v4
	v_mul_lo_u32 v11, s1, v4
	v_mul_lo_u32 v10, s0, v4
	v_add_u32_e32 v8, v9, v8
	v_add_u32_e32 v8, v8, v11
	v_mul_hi_u32 v9, v4, v10
	v_mul_lo_u32 v11, v4, v8
	v_mul_hi_u32 v13, v4, v8
	v_mul_hi_u32 v12, v7, v10
	v_mul_lo_u32 v10, v7, v10
	v_mul_hi_u32 v14, v7, v8
	v_add_co_u32_e32 v9, vcc, v9, v11
	v_addc_co_u32_e32 v11, vcc, 0, v13, vcc
	v_mul_lo_u32 v8, v7, v8
	v_add_co_u32_e32 v9, vcc, v9, v10
	v_addc_co_u32_e32 v9, vcc, v11, v12, vcc
	v_addc_co_u32_e32 v10, vcc, 0, v14, vcc
	v_add_co_u32_e32 v8, vcc, v9, v8
	v_addc_co_u32_e32 v9, vcc, 0, v10, vcc
	v_add_co_u32_e32 v4, vcc, v4, v8
	v_addc_co_u32_e32 v7, vcc, v7, v9, vcc
	v_mul_lo_u32 v8, s0, v7
	v_mul_hi_u32 v9, s0, v4
	v_mul_lo_u32 v10, s1, v4
	v_mul_lo_u32 v11, s0, v4
	v_add_u32_e32 v8, v9, v8
	v_add_u32_e32 v8, v8, v10
	v_mul_lo_u32 v12, v4, v8
	v_mul_hi_u32 v13, v4, v11
	v_mul_hi_u32 v14, v4, v8
	;; [unrolled: 1-line block ×3, first 2 shown]
	v_mul_lo_u32 v11, v7, v11
	v_mul_hi_u32 v9, v7, v8
	v_add_co_u32_e32 v12, vcc, v13, v12
	v_addc_co_u32_e32 v13, vcc, 0, v14, vcc
	v_mul_lo_u32 v8, v7, v8
	v_add_co_u32_e32 v11, vcc, v12, v11
	v_addc_co_u32_e32 v10, vcc, v13, v10, vcc
	v_addc_co_u32_e32 v9, vcc, 0, v9, vcc
	v_add_co_u32_e32 v8, vcc, v10, v8
	v_addc_co_u32_e32 v9, vcc, 0, v9, vcc
	v_add_co_u32_e32 v4, vcc, v4, v8
	v_addc_co_u32_e32 v9, vcc, v7, v9, vcc
	v_mad_u64_u32 v[7:8], s[0:1], v5, v9, 0
	v_mul_hi_u32 v10, v5, v4
	v_add_co_u32_e32 v11, vcc, v10, v7
	v_addc_co_u32_e32 v12, vcc, 0, v8, vcc
	v_mad_u64_u32 v[7:8], s[0:1], v6, v4, 0
	v_mad_u64_u32 v[9:10], s[0:1], v6, v9, 0
	v_add_co_u32_e32 v4, vcc, v11, v7
	v_addc_co_u32_e32 v4, vcc, v12, v8, vcc
	v_addc_co_u32_e32 v7, vcc, 0, v10, vcc
	v_add_co_u32_e32 v4, vcc, v4, v9
	v_addc_co_u32_e32 v9, vcc, 0, v7, vcc
	v_mul_lo_u32 v10, s21, v4
	v_mul_lo_u32 v11, s20, v9
	v_mad_u64_u32 v[7:8], s[0:1], s20, v4, 0
	v_add3_u32 v8, v8, v11, v10
	v_sub_u32_e32 v10, v6, v8
	v_mov_b32_e32 v11, s21
	v_sub_co_u32_e32 v7, vcc, v5, v7
	v_subb_co_u32_e64 v10, s[0:1], v10, v11, vcc
	v_subrev_co_u32_e64 v11, s[0:1], s20, v7
	v_subbrev_co_u32_e64 v10, s[0:1], 0, v10, s[0:1]
	v_cmp_le_u32_e64 s[0:1], s21, v10
	v_cndmask_b32_e64 v12, 0, -1, s[0:1]
	v_cmp_le_u32_e64 s[0:1], s20, v11
	v_cndmask_b32_e64 v11, 0, -1, s[0:1]
	v_cmp_eq_u32_e64 s[0:1], s21, v10
	v_cndmask_b32_e64 v10, v12, v11, s[0:1]
	v_add_co_u32_e64 v11, s[0:1], 2, v4
	v_addc_co_u32_e64 v12, s[0:1], 0, v9, s[0:1]
	v_add_co_u32_e64 v13, s[0:1], 1, v4
	v_addc_co_u32_e64 v14, s[0:1], 0, v9, s[0:1]
	v_subb_co_u32_e32 v8, vcc, v6, v8, vcc
	v_cmp_ne_u32_e64 s[0:1], 0, v10
	v_cmp_le_u32_e32 vcc, s21, v8
	v_cndmask_b32_e64 v10, v14, v12, s[0:1]
	v_cndmask_b32_e64 v12, 0, -1, vcc
	v_cmp_le_u32_e32 vcc, s20, v7
	v_cndmask_b32_e64 v7, 0, -1, vcc
	v_cmp_eq_u32_e32 vcc, s21, v8
	v_cndmask_b32_e32 v7, v12, v7, vcc
	v_cmp_ne_u32_e32 vcc, 0, v7
	v_cndmask_b32_e64 v7, v13, v11, s[0:1]
	v_cndmask_b32_e32 v8, v9, v10, vcc
	v_cndmask_b32_e32 v7, v4, v7, vcc
.LBB0_4:                                ;   in Loop: Header=BB0_2 Depth=1
	s_andn2_saveexec_b64 s[0:1], s[22:23]
	s_cbranch_execz .LBB0_6
; %bb.5:                                ;   in Loop: Header=BB0_2 Depth=1
	v_cvt_f32_u32_e32 v4, s20
	s_sub_i32 s22, 0, s20
	v_rcp_iflag_f32_e32 v4, v4
	v_mul_f32_e32 v4, 0x4f7ffffe, v4
	v_cvt_u32_f32_e32 v4, v4
	v_mul_lo_u32 v7, s22, v4
	v_mul_hi_u32 v7, v4, v7
	v_add_u32_e32 v4, v4, v7
	v_mul_hi_u32 v4, v5, v4
	v_mul_lo_u32 v7, v4, s20
	v_add_u32_e32 v8, 1, v4
	v_sub_u32_e32 v7, v5, v7
	v_subrev_u32_e32 v9, s20, v7
	v_cmp_le_u32_e32 vcc, s20, v7
	v_cndmask_b32_e32 v7, v7, v9, vcc
	v_cndmask_b32_e32 v4, v4, v8, vcc
	v_add_u32_e32 v8, 1, v4
	v_cmp_le_u32_e32 vcc, s20, v7
	v_cndmask_b32_e32 v7, v4, v8, vcc
	v_mov_b32_e32 v8, v3
.LBB0_6:                                ;   in Loop: Header=BB0_2 Depth=1
	s_or_b64 exec, exec, s[0:1]
	v_mul_lo_u32 v4, v8, s20
	v_mul_lo_u32 v11, v7, s21
	v_mad_u64_u32 v[9:10], s[0:1], v7, s20, 0
	s_load_dwordx2 s[0:1], s[6:7], 0x0
	s_add_u32 s18, s18, 1
	v_add3_u32 v4, v10, v11, v4
	v_sub_co_u32_e32 v5, vcc, v5, v9
	v_subb_co_u32_e32 v4, vcc, v6, v4, vcc
	s_waitcnt lgkmcnt(0)
	v_mul_lo_u32 v4, s0, v4
	v_mul_lo_u32 v6, s1, v5
	v_mad_u64_u32 v[1:2], s[0:1], s0, v5, v[1:2]
	s_addc_u32 s19, s19, 0
	s_add_u32 s6, s6, 8
	v_add3_u32 v2, v6, v2, v4
	v_mov_b32_e32 v4, s10
	v_mov_b32_e32 v5, s11
	s_addc_u32 s7, s7, 0
	v_cmp_ge_u64_e32 vcc, s[18:19], v[4:5]
	s_add_u32 s16, s16, 8
	s_addc_u32 s17, s17, 0
	s_cbranch_vccnz .LBB0_9
; %bb.7:                                ;   in Loop: Header=BB0_2 Depth=1
	v_mov_b32_e32 v5, v7
	v_mov_b32_e32 v6, v8
	s_branch .LBB0_2
.LBB0_8:
	v_mov_b32_e32 v8, v6
	v_mov_b32_e32 v7, v5
.LBB0_9:
	s_lshl_b64 s[0:1], s[10:11], 3
	s_add_u32 s0, s2, s0
	s_addc_u32 s1, s3, s1
	s_load_dwordx2 s[2:3], s[0:1], 0x0
	s_load_dwordx2 s[6:7], s[4:5], 0x20
                                        ; implicit-def: $sgpr4
                                        ; implicit-def: $vgpr25
                                        ; implicit-def: $vgpr20
                                        ; implicit-def: $vgpr21
                                        ; implicit-def: $vgpr22
                                        ; implicit-def: $vgpr23
                                        ; implicit-def: $vgpr24
                                        ; implicit-def: $vgpr11
                                        ; implicit-def: $vgpr12
	s_waitcnt lgkmcnt(0)
	v_mad_u64_u32 v[1:2], s[0:1], s2, v7, v[1:2]
	s_mov_b32 s0, 0x4ec4ec5
	v_mul_lo_u32 v3, s2, v8
	v_mul_lo_u32 v4, s3, v7
	v_mul_hi_u32 v5, v0, s0
	v_cmp_gt_u64_e32 vcc, s[6:7], v[7:8]
	v_cmp_le_u64_e64 s[0:1], s[6:7], v[7:8]
	v_add3_u32 v2, v4, v2, v3
	v_mul_u32_u24_e32 v3, 52, v5
	v_sub_u32_e32 v18, v0, v3
	v_add_u32_e32 v19, 52, v18
                                        ; implicit-def: $vgpr4
	s_and_saveexec_b64 s[2:3], s[0:1]
	s_xor_b64 s[0:1], exec, s[2:3]
; %bb.10:
	v_add_u32_e32 v25, 52, v18
	v_add_u32_e32 v20, 0x68, v18
	;; [unrolled: 1-line block ×9, first 2 shown]
	s_mov_b32 s4, 0
; %bb.11:
	s_or_saveexec_b64 s[2:3], s[0:1]
	v_lshlrev_b64 v[16:17], 2, v[1:2]
	v_mov_b32_e32 v3, s4
	v_mov_b32_e32 v2, s4
	v_mov_b32_e32 v1, s4
	v_mov_b32_e32 v0, s4
	v_mov_b32_e32 v60, s4
	v_mov_b32_e32 v59, s4
	v_mov_b32_e32 v7, s4
	v_mov_b32_e32 v5, s4
	v_mov_b32_e32 v67, s4
	v_mov_b32_e32 v63, s4
	v_mov_b32_e32 v64, s4
	v_mov_b32_e32 v65, s4
	v_mov_b32_e32 v77, s4
                                        ; implicit-def: $vgpr32
                                        ; implicit-def: $vgpr10
                                        ; implicit-def: $vgpr72
                                        ; implicit-def: $vgpr9
                                        ; implicit-def: $vgpr71
                                        ; implicit-def: $vgpr8
                                        ; implicit-def: $vgpr70
                                        ; implicit-def: $vgpr6
                                        ; implicit-def: $vgpr69
                                        ; implicit-def: $vgpr26
                                        ; implicit-def: $vgpr68
                                        ; implicit-def: $vgpr15
                                        ; implicit-def: $vgpr66
                                        ; implicit-def: $vgpr14
                                        ; implicit-def: $vgpr62
                                        ; implicit-def: $vgpr13
                                        ; implicit-def: $vgpr61
                                        ; implicit-def: $vgpr30
                                        ; implicit-def: $vgpr73
                                        ; implicit-def: $vgpr29
                                        ; implicit-def: $vgpr74
                                        ; implicit-def: $vgpr28
                                        ; implicit-def: $vgpr75
                                        ; implicit-def: $vgpr27
                                        ; implicit-def: $vgpr76
                                        ; implicit-def: $vgpr31
	s_xor_b64 exec, exec, s[2:3]
	s_cbranch_execz .LBB0_13
; %bb.12:
	v_mad_u64_u32 v[0:1], s[0:1], s12, v18, 0
	v_add_u32_e32 v5, 0x2a4, v18
	v_mov_b32_e32 v4, s15
	v_mad_u64_u32 v[1:2], s[0:1], s13, v18, v[1:2]
	v_mad_u64_u32 v[2:3], s[0:1], s12, v5, 0
	v_add_co_u32_e64 v54, s[0:1], s14, v16
	v_addc_co_u32_e64 v55, s[0:1], v4, v17, s[0:1]
	v_mad_u64_u32 v[3:4], s[0:1], s13, v5, v[3:4]
	v_mad_u64_u32 v[4:5], s[0:1], s12, v19, 0
	v_lshlrev_b64 v[0:1], 2, v[0:1]
	v_add_u32_e32 v20, 0x68, v18
	v_add_co_u32_e64 v11, s[0:1], v54, v0
	v_addc_co_u32_e64 v12, s[0:1], v55, v1, s[0:1]
	v_lshlrev_b64 v[0:1], 2, v[2:3]
	v_mov_b32_e32 v2, v5
	v_mad_u64_u32 v[2:3], s[0:1], s13, v19, v[2:3]
	v_add_u32_e32 v3, 0x2d8, v18
	v_mad_u64_u32 v[6:7], s[0:1], s12, v3, 0
	v_add_co_u32_e64 v13, s[0:1], v54, v0
	v_mov_b32_e32 v5, v2
	v_mov_b32_e32 v2, v7
	v_addc_co_u32_e64 v14, s[0:1], v55, v1, s[0:1]
	v_mad_u64_u32 v[2:3], s[0:1], s13, v3, v[2:3]
	v_lshlrev_b64 v[0:1], 2, v[4:5]
	v_mad_u64_u32 v[3:4], s[0:1], s12, v20, 0
	v_add_co_u32_e64 v23, s[0:1], v54, v0
	v_mov_b32_e32 v7, v2
	v_mov_b32_e32 v2, v4
	v_addc_co_u32_e64 v24, s[0:1], v55, v1, s[0:1]
	v_lshlrev_b64 v[0:1], 2, v[6:7]
	v_mad_u64_u32 v[4:5], s[0:1], s13, v20, v[2:3]
	v_add_u32_e32 v7, 0x30c, v18
	v_mad_u64_u32 v[5:6], s[0:1], s12, v7, 0
	v_add_co_u32_e64 v25, s[0:1], v54, v0
	v_mov_b32_e32 v2, v6
	v_addc_co_u32_e64 v26, s[0:1], v55, v1, s[0:1]
	v_lshlrev_b64 v[0:1], 2, v[3:4]
	v_mad_u64_u32 v[2:3], s[0:1], s13, v7, v[2:3]
	v_add_u32_e32 v21, 0x9c, v18
	v_mad_u64_u32 v[3:4], s[0:1], s12, v21, 0
	v_add_co_u32_e64 v27, s[0:1], v54, v0
	v_mov_b32_e32 v6, v2
	v_mov_b32_e32 v2, v4
	v_addc_co_u32_e64 v28, s[0:1], v55, v1, s[0:1]
	v_lshlrev_b64 v[0:1], 2, v[5:6]
	v_mad_u64_u32 v[4:5], s[0:1], s13, v21, v[2:3]
	v_or_b32_e32 v7, 0x340, v18
	v_mad_u64_u32 v[5:6], s[0:1], s12, v7, 0
	v_add_co_u32_e64 v29, s[0:1], v54, v0
	v_mov_b32_e32 v2, v6
	v_addc_co_u32_e64 v30, s[0:1], v55, v1, s[0:1]
	v_lshlrev_b64 v[0:1], 2, v[3:4]
	v_mad_u64_u32 v[2:3], s[0:1], s13, v7, v[2:3]
	v_add_co_u32_e64 v31, s[0:1], v54, v0
	v_mov_b32_e32 v6, v2
	v_add_u32_e32 v22, 0xd0, v18
	v_addc_co_u32_e64 v32, s[0:1], v55, v1, s[0:1]
	v_lshlrev_b64 v[0:1], 2, v[5:6]
	v_mad_u64_u32 v[4:5], s[0:1], s12, v22, 0
	v_add_co_u32_e64 v33, s[0:1], v54, v0
	v_mov_b32_e32 v0, v5
	v_addc_co_u32_e64 v34, s[0:1], v55, v1, s[0:1]
	v_mad_u64_u32 v[5:6], s[0:1], s13, v22, v[0:1]
	global_load_dword v3, v[11:12], off
	global_load_dword v10, v[13:14], off
	;; [unrolled: 1-line block ×8, first 2 shown]
	v_add_u32_e32 v15, 0x374, v18
	v_mad_u64_u32 v[35:36], s[0:1], s12, v15, 0
	v_add_u32_e32 v23, 0x104, v18
	v_lshlrev_b64 v[4:5], 2, v[4:5]
	v_mov_b32_e32 v7, v36
	v_add_u32_e32 v24, 0x138, v18
	v_add_u32_e32 v25, 0x16c, v18
	;; [unrolled: 1-line block ×3, first 2 shown]
	s_waitcnt vmcnt(4)
	v_lshrrev_b32_e32 v72, 16, v9
	s_waitcnt vmcnt(2)
	v_mad_u64_u32 v[11:12], s[0:1], s13, v15, v[7:8]
	v_mad_u64_u32 v[12:13], s[0:1], s12, v23, 0
	v_add_co_u32_e64 v27, s[0:1], v54, v4
	v_mov_b32_e32 v7, v13
	v_addc_co_u32_e64 v28, s[0:1], v55, v5, s[0:1]
	v_mov_b32_e32 v36, v11
	v_mad_u64_u32 v[13:14], s[0:1], s13, v23, v[7:8]
	v_add_u32_e32 v11, 0x3a8, v18
	v_mad_u64_u32 v[14:15], s[0:1], s12, v11, 0
	v_lshlrev_b64 v[4:5], 2, v[35:36]
	v_lshrrev_b32_e32 v71, 16, v8
	v_add_co_u32_e64 v29, s[0:1], v54, v4
	v_mov_b32_e32 v7, v15
	v_addc_co_u32_e64 v30, s[0:1], v55, v5, s[0:1]
	v_lshlrev_b64 v[4:5], 2, v[12:13]
	v_mad_u64_u32 v[11:12], s[0:1], s13, v11, v[7:8]
	v_mad_u64_u32 v[12:13], s[0:1], s12, v24, 0
	v_add_co_u32_e64 v31, s[0:1], v54, v4
	v_mov_b32_e32 v15, v11
	v_mov_b32_e32 v7, v13
	v_addc_co_u32_e64 v32, s[0:1], v55, v5, s[0:1]
	v_lshlrev_b64 v[4:5], 2, v[14:15]
	v_mad_u64_u32 v[13:14], s[0:1], s13, v24, v[7:8]
	v_add_u32_e32 v11, 0x3dc, v18
	v_mad_u64_u32 v[14:15], s[0:1], s12, v11, 0
	v_add_co_u32_e64 v33, s[0:1], v54, v4
	v_mov_b32_e32 v7, v15
	v_addc_co_u32_e64 v34, s[0:1], v55, v5, s[0:1]
	v_lshlrev_b64 v[4:5], 2, v[12:13]
	v_mad_u64_u32 v[11:12], s[0:1], s13, v11, v[7:8]
	v_mad_u64_u32 v[12:13], s[0:1], s12, v25, 0
	v_add_co_u32_e64 v35, s[0:1], v54, v4
	v_mov_b32_e32 v15, v11
	v_mov_b32_e32 v7, v13
	v_addc_co_u32_e64 v36, s[0:1], v55, v5, s[0:1]
	v_lshlrev_b64 v[4:5], 2, v[14:15]
	v_mad_u64_u32 v[13:14], s[0:1], s13, v25, v[7:8]
	v_add_u32_e32 v11, 0x410, v18
	v_mad_u64_u32 v[14:15], s[0:1], s12, v11, 0
	v_add_co_u32_e64 v37, s[0:1], v54, v4
	v_mov_b32_e32 v7, v15
	v_addc_co_u32_e64 v38, s[0:1], v55, v5, s[0:1]
	v_lshlrev_b64 v[4:5], 2, v[12:13]
	v_mad_u64_u32 v[11:12], s[0:1], s13, v11, v[7:8]
	v_add_co_u32_e64 v39, s[0:1], v54, v4
	v_add_u32_e32 v4, 0x1a0, v18
	v_addc_co_u32_e64 v40, s[0:1], v55, v5, s[0:1]
	v_mad_u64_u32 v[41:42], s[0:1], s12, v4, 0
	v_mov_b32_e32 v15, v11
	v_lshlrev_b64 v[11:12], 2, v[14:15]
	v_mov_b32_e32 v5, v42
	v_add_co_u32_e64 v11, s[0:1], v54, v11
	v_addc_co_u32_e64 v12, s[0:1], v55, v12, s[0:1]
	s_waitcnt vmcnt(0)
	v_mad_u64_u32 v[25:26], s[0:1], s13, v4, v[5:6]
	global_load_dword v60, v[27:28], off
	global_load_dword v26, v[29:30], off
	;; [unrolled: 1-line block ×8, first 2 shown]
	v_mad_u64_u32 v[43:44], s[0:1], s12, v45, 0
	v_mov_b32_e32 v42, v25
	v_add_u32_e32 v30, 0x1d4, v18
	v_mov_b32_e32 v25, v44
	v_lshlrev_b64 v[11:12], 2, v[41:42]
	v_lshrrev_b32_e32 v70, 16, v6
	s_waitcnt vmcnt(6)
	v_mad_u64_u32 v[27:28], s[0:1], s13, v45, v[25:26]
	v_mad_u64_u32 v[28:29], s[0:1], s12, v30, 0
	v_add_co_u32_e64 v31, s[0:1], v54, v11
	v_mov_b32_e32 v25, v29
	v_addc_co_u32_e64 v32, s[0:1], v55, v12, s[0:1]
	v_mad_u64_u32 v[29:30], s[0:1], s13, v30, v[25:26]
	v_add_u32_e32 v25, 0x478, v18
	v_mad_u64_u32 v[33:34], s[0:1], s12, v25, 0
	v_mov_b32_e32 v44, v27
	v_lshlrev_b64 v[11:12], 2, v[43:44]
	v_lshlrev_b64 v[27:28], 2, v[28:29]
	v_add_co_u32_e64 v35, s[0:1], v54, v11
	v_mov_b32_e32 v11, v34
	v_addc_co_u32_e64 v36, s[0:1], v55, v12, s[0:1]
	v_mad_u64_u32 v[29:30], s[0:1], s13, v25, v[11:12]
	v_add_u32_e32 v11, 0x208, v18
	v_mad_u64_u32 v[37:38], s[0:1], s12, v11, 0
	v_add_co_u32_e64 v39, s[0:1], v54, v27
	v_mov_b32_e32 v34, v29
	v_add_u32_e32 v25, 0x4ac, v18
	v_addc_co_u32_e64 v40, s[0:1], v55, v28, s[0:1]
	v_lshlrev_b64 v[27:28], 2, v[33:34]
	v_mov_b32_e32 v12, v38
	v_mad_u64_u32 v[33:34], s[0:1], s12, v25, 0
	s_waitcnt vmcnt(0)
	v_mad_u64_u32 v[29:30], s[0:1], s13, v11, v[12:13]
	v_add_co_u32_e64 v41, s[0:1], v54, v27
	v_mov_b32_e32 v12, v34
	v_addc_co_u32_e64 v42, s[0:1], v55, v28, s[0:1]
	v_mov_b32_e32 v38, v29
	v_mad_u64_u32 v[29:30], s[0:1], s13, v25, v[12:13]
	v_add_u32_e32 v25, 0x23c, v18
	v_lshlrev_b64 v[27:28], 2, v[37:38]
	v_mad_u64_u32 v[37:38], s[0:1], s12, v25, 0
	v_add_co_u32_e64 v43, s[0:1], v54, v27
	v_mov_b32_e32 v12, v38
	v_addc_co_u32_e64 v44, s[0:1], v55, v28, s[0:1]
	v_mov_b32_e32 v34, v29
	v_mad_u64_u32 v[29:30], s[0:1], s13, v25, v[12:13]
	v_add_u32_e32 v25, 0x4e0, v18
	v_lshlrev_b64 v[27:28], 2, v[33:34]
	v_mad_u64_u32 v[33:34], s[0:1], s12, v25, 0
	v_add_co_u32_e64 v45, s[0:1], v54, v27
	v_mov_b32_e32 v12, v34
	v_addc_co_u32_e64 v46, s[0:1], v55, v28, s[0:1]
	v_mov_b32_e32 v38, v29
	v_mad_u64_u32 v[29:30], s[0:1], s13, v25, v[12:13]
	v_lshlrev_b64 v[27:28], 2, v[37:38]
	v_add_u32_e32 v12, 0x270, v18
	v_add_co_u32_e64 v37, s[0:1], v54, v27
	v_mov_b32_e32 v34, v29
	v_addc_co_u32_e64 v38, s[0:1], v55, v28, s[0:1]
	v_lshlrev_b64 v[27:28], 2, v[33:34]
	v_lshrrev_b32_e32 v69, 16, v26
	v_add_co_u32_e64 v33, s[0:1], v54, v27
	v_addc_co_u32_e64 v34, s[0:1], v55, v28, s[0:1]
	v_mad_u64_u32 v[47:48], s[0:1], s12, v12, 0
	v_add_u32_e32 v27, 0x514, v18
	v_mad_u64_u32 v[49:50], s[0:1], s12, v27, 0
	v_mov_b32_e32 v25, v48
	v_mad_u64_u32 v[51:52], s[0:1], s13, v12, v[25:26]
	v_mov_b32_e32 v25, v50
	v_mad_u64_u32 v[52:53], s[0:1], s13, v27, v[25:26]
	global_load_dword v67, v[31:32], off
	global_load_dword v30, v[35:36], off
	;; [unrolled: 1-line block ×8, first 2 shown]
	v_mov_b32_e32 v48, v51
	v_mov_b32_e32 v50, v52
	v_lshlrev_b64 v[34:35], 2, v[49:50]
	v_lshlrev_b64 v[32:33], 2, v[47:48]
	v_add_co_u32_e64 v34, s[0:1], v54, v34
	v_addc_co_u32_e64 v35, s[0:1], v55, v35, s[0:1]
	v_add_co_u32_e64 v32, s[0:1], v54, v32
	global_load_dword v31, v[34:35], off
	v_addc_co_u32_e64 v33, s[0:1], v55, v33, s[0:1]
	global_load_dword v77, v[32:33], off
	v_lshrrev_b32_e32 v32, 16, v10
	v_lshrrev_b32_e32 v68, 16, v15
	;; [unrolled: 1-line block ×4, first 2 shown]
	v_mov_b32_e32 v25, v19
	s_waitcnt vmcnt(8)
	v_lshrrev_b32_e32 v61, 16, v30
	s_waitcnt vmcnt(6)
	v_lshrrev_b32_e32 v73, 16, v29
	;; [unrolled: 2-line block ×5, first 2 shown]
.LBB0_13:
	s_or_b64 exec, exec, s[2:3]
	v_lshrrev_b32_e32 v33, 16, v3
	v_sub_f16_e32 v10, v3, v10
	v_sub_f16_e32 v38, v33, v32
	;; [unrolled: 1-line block ×5, first 2 shown]
	v_fma_f16 v3, v3, 2.0, -v10
	v_fma_f16 v41, v33, 2.0, -v38
	;; [unrolled: 1-line block ×5, first 2 shown]
	v_sub_f16_e32 v26, v60, v26
	v_fma_f16 v35, v60, 2.0, -v26
	v_sub_f16_e32 v15, v59, v15
	v_sub_f16_e32 v46, v65, v27
	v_pack_b32_f16 v3, v3, v10
	v_lshl_add_u32 v78, v18, 2, 0
	v_pack_b32_f16 v9, v32, v9
	v_lshl_add_u32 v79, v25, 2, 0
	;; [unrolled: 2-line block ×4, first 2 shown]
	v_fma_f16 v36, v59, 2.0, -v15
	v_sub_f16_e32 v14, v7, v14
	v_sub_f16_e32 v44, v64, v28
	ds_write_b32 v78, v3
	ds_write_b32 v79, v9
	;; [unrolled: 1-line block ×4, first 2 shown]
	v_pack_b32_f16 v6, v35, v26
	v_lshl_add_u32 v28, v22, 2, 0
	v_fma_f16 v37, v7, 2.0, -v14
	v_sub_f16_e32 v13, v5, v13
	ds_write_b32 v28, v6
	v_lshl_add_u32 v6, v23, 2, 0
	v_pack_b32_f16 v8, v36, v15
	v_fma_f16 v39, v5, 2.0, -v13
	v_sub_f16_e32 v40, v67, v30
	ds_write_b32 v6, v8
	v_lshl_add_u32 v32, v24, 2, 0
	v_pack_b32_f16 v8, v37, v14
	v_fma_f16 v42, v67, 2.0, -v40
	v_sub_f16_e32 v29, v63, v29
	ds_write_b32 v32, v8
	v_pack_b32_f16 v8, v39, v13
	v_fma_f16 v43, v63, 2.0, -v29
	ds_write_b32 v78, v8 offset:1456
	v_lshlrev_b32_e32 v8, 1, v4
	v_lshl_add_u32 v4, v4, 2, 0
	v_pack_b32_f16 v13, v42, v40
	v_fma_f16 v45, v64, 2.0, -v44
	v_fma_f16 v3, v65, 2.0, -v46
	ds_write_b32 v4, v13
	v_pack_b32_f16 v13, v43, v29
	s_waitcnt vmcnt(0)
	v_sub_f16_e32 v10, v77, v31
	ds_write_b32 v78, v13 offset:1872
	v_lshlrev_b32_e32 v13, 1, v11
	v_lshl_add_u32 v81, v11, 2, 0
	v_pack_b32_f16 v11, v45, v44
	v_pack_b32_f16 v3, v3, v46
	v_fma_f16 v9, v77, 2.0, -v10
	v_lshlrev_b32_e32 v33, 1, v24
	ds_write_b32 v81, v11
	ds_write_b32 v78, v3 offset:2288
	v_lshlrev_b32_e32 v3, 1, v12
	v_lshl_add_u32 v82, v12, 2, 0
	v_lshlrev_b32_e32 v30, 1, v20
	v_lshlrev_b32_e32 v31, 1, v22
	v_pack_b32_f16 v9, v9, v10
	v_lshl_add_u32 v26, v18, 1, 0
	v_sub_u32_e32 v39, v32, v33
	v_sub_u32_e32 v37, v81, v13
	;; [unrolled: 1-line block ×3, first 2 shown]
	v_pack_b32_f16 v3, v41, v38
	v_lshrrev_b32_e32 v2, 16, v2
	ds_write_b32 v82, v9
	s_waitcnt lgkmcnt(0)
	; wave barrier
	s_waitcnt lgkmcnt(0)
	v_sub_u32_e32 v34, v27, v30
	v_sub_u32_e32 v35, v28, v31
	v_sub_u32_e32 v40, v4, v8
	ds_read_u16 v52, v39
	ds_read_u16 v51, v40
	ds_read_u16 v44, v37
	ds_read_u16 v42, v36
	v_lshl_add_u32 v29, v25, 1, 0
	ds_read_u16 v10, v26
	ds_read_u16 v56, v26 offset:312
	ds_read_u16 v55, v26 offset:520
	;; [unrolled: 1-line block ×15, first 2 shown]
	ds_read_u16 v57, v35
	ds_read_u16 v58, v34
	ds_read_u16 v8, v29
	ds_read_u16 v12, v26 offset:2600
	ds_read_u16 v41, v26 offset:2496
	;; [unrolled: 1-line block ×3, first 2 shown]
	s_waitcnt lgkmcnt(0)
	; wave barrier
	s_waitcnt lgkmcnt(0)
	ds_write_b32 v78, v3
	v_sub_f16_e32 v3, v2, v72
	v_fma_f16 v2, v2, 2.0, -v3
	v_pack_b32_f16 v2, v2, v3
	v_lshrrev_b32_e32 v1, 16, v1
	ds_write_b32 v79, v2
	v_sub_f16_e32 v2, v1, v71
	v_fma_f16 v1, v1, 2.0, -v2
	v_pack_b32_f16 v1, v1, v2
	v_lshrrev_b32_e32 v0, 16, v0
	ds_write_b32 v27, v1
	v_sub_f16_e32 v1, v0, v70
	v_fma_f16 v0, v0, 2.0, -v1
	v_pack_b32_f16 v0, v0, v1
	ds_write_b32 v80, v0
	v_lshrrev_b32_e32 v0, 16, v60
	v_sub_f16_e32 v1, v0, v69
	v_fma_f16 v0, v0, 2.0, -v1
	v_pack_b32_f16 v0, v0, v1
	ds_write_b32 v28, v0
	v_lshrrev_b32_e32 v0, 16, v59
	;; [unrolled: 5-line block ×4, first 2 shown]
	v_sub_f16_e32 v1, v0, v62
	v_fma_f16 v0, v0, 2.0, -v1
	v_pack_b32_f16 v0, v0, v1
	ds_write_b32 v78, v0 offset:1456
	v_lshrrev_b32_e32 v0, 16, v67
	v_sub_f16_e32 v1, v0, v61
	v_fma_f16 v0, v0, 2.0, -v1
	v_pack_b32_f16 v0, v0, v1
	v_lshrrev_b32_e32 v1, 16, v63
	v_sub_f16_e32 v2, v1, v73
	v_lshrrev_b32_e32 v3, 16, v64
	v_fma_f16 v1, v1, 2.0, -v2
	v_sub_f16_e32 v5, v3, v74
	v_lshrrev_b32_e32 v6, 16, v65
	v_fma_f16 v3, v3, 2.0, -v5
	v_sub_f16_e32 v7, v6, v75
	v_lshrrev_b32_e32 v9, 16, v77
	ds_write_b32 v4, v0
	v_pack_b32_f16 v0, v1, v2
	v_fma_f16 v6, v6, 2.0, -v7
	v_sub_f16_e32 v59, v9, v76
	ds_write_b32 v78, v0 offset:1872
	v_pack_b32_f16 v0, v3, v5
	v_fma_f16 v9, v9, 2.0, -v59
	ds_write_b32 v81, v0
	v_pack_b32_f16 v0, v6, v7
	ds_write_b32 v78, v0 offset:2288
	v_pack_b32_f16 v0, v9, v59
	v_and_b32_e32 v9, 1, v18
	ds_write_b32 v82, v0
	v_mul_u32_u24_e32 v0, 12, v9
	v_lshlrev_b32_e32 v59, 2, v0
	s_waitcnt lgkmcnt(0)
	; wave barrier
	s_waitcnt lgkmcnt(0)
	global_load_dwordx4 v[4:7], v59, s[8:9]
	global_load_dwordx4 v[0:3], v59, s[8:9] offset:16
	ds_read_u16 v63, v34
	ds_read_u16 v62, v35
	;; [unrolled: 1-line block ×4, first 2 shown]
	ds_read_u16 v64, v26 offset:2600
	ds_read_u16 v71, v29
	s_movk_i32 s10, 0x3b15
	s_movk_i32 s5, 0x388b
	;; [unrolled: 1-line block ×3, first 2 shown]
	s_mov_b32 s6, 0xb5ac
	s_mov_b32 s7, 0xb9fd
	;; [unrolled: 1-line block ×3, first 2 shown]
	v_cmp_gt_u32_e64 s[0:1], 26, v18
	s_mov_b32 s19, 0xb770ba95
	s_mov_b32 s16, 0x3b15388b
	;; [unrolled: 1-line block ×12, first 2 shown]
	s_waitcnt vmcnt(1) lgkmcnt(5)
	v_mul_f16_sdwa v65, v63, v4 dst_sel:DWORD dst_unused:UNUSED_PAD src0_sel:DWORD src1_sel:WORD_1
	v_fma_f16 v69, v58, v4, -v65
	global_load_dwordx4 v[65:68], v59, s[8:9] offset:32
	s_waitcnt lgkmcnt(4)
	v_mul_f16_sdwa v59, v62, v5 dst_sel:DWORD dst_unused:UNUSED_PAD src0_sel:DWORD src1_sel:WORD_1
	v_fma_f16 v59, v57, v5, -v59
	v_mul_f16_sdwa v57, v57, v5 dst_sel:DWORD dst_unused:UNUSED_PAD src0_sel:DWORD src1_sel:WORD_1
	v_fma_f16 v57, v62, v5, v57
	s_waitcnt lgkmcnt(3)
	v_mul_f16_sdwa v62, v61, v6 dst_sel:DWORD dst_unused:UNUSED_PAD src0_sel:DWORD src1_sel:WORD_1
	v_fma_f16 v62, v52, v6, -v62
	v_mul_f16_sdwa v52, v52, v6 dst_sel:DWORD dst_unused:UNUSED_PAD src0_sel:DWORD src1_sel:WORD_1
	v_fma_f16 v52, v61, v6, v52
	s_waitcnt lgkmcnt(2)
	v_mul_f16_sdwa v61, v60, v7 dst_sel:DWORD dst_unused:UNUSED_PAD src0_sel:DWORD src1_sel:WORD_1
	v_mul_f16_sdwa v58, v58, v4 dst_sel:DWORD dst_unused:UNUSED_PAD src0_sel:DWORD src1_sel:WORD_1
	v_fma_f16 v61, v51, v7, -v61
	v_mul_f16_sdwa v51, v51, v7 dst_sel:DWORD dst_unused:UNUSED_PAD src0_sel:DWORD src1_sel:WORD_1
	v_fma_f16 v58, v63, v4, v58
	v_fma_f16 v51, v60, v7, v51
	ds_read_u16 v60, v26 offset:312
	ds_read_u16 v63, v26 offset:520
	;; [unrolled: 1-line block ×7, first 2 shown]
	ds_read_u16 v82, v26
	s_waitcnt lgkmcnt(7)
	v_mul_f16_sdwa v72, v60, v4 dst_sel:DWORD dst_unused:UNUSED_PAD src0_sel:DWORD src1_sel:WORD_1
	v_fma_f16 v76, v56, v4, -v72
	v_mul_f16_sdwa v56, v56, v4 dst_sel:DWORD dst_unused:UNUSED_PAD src0_sel:DWORD src1_sel:WORD_1
	v_fma_f16 v77, v60, v4, v56
	s_waitcnt lgkmcnt(6)
	v_mul_f16_sdwa v4, v63, v5 dst_sel:DWORD dst_unused:UNUSED_PAD src0_sel:DWORD src1_sel:WORD_1
	v_fma_f16 v74, v55, v5, -v4
	v_mul_f16_sdwa v4, v55, v5 dst_sel:DWORD dst_unused:UNUSED_PAD src0_sel:DWORD src1_sel:WORD_1
	v_fma_f16 v75, v63, v5, v4
	;; [unrolled: 5-line block ×3, first 2 shown]
	s_waitcnt lgkmcnt(4)
	v_mul_f16_sdwa v4, v78, v7 dst_sel:DWORD dst_unused:UNUSED_PAD src0_sel:DWORD src1_sel:WORD_1
	ds_read_u16 v5, v37
	v_fma_f16 v6, v53, v7, -v4
	v_mul_f16_sdwa v4, v53, v7 dst_sel:DWORD dst_unused:UNUSED_PAD src0_sel:DWORD src1_sel:WORD_1
	v_fma_f16 v70, v78, v7, v4
	ds_read_u16 v4, v36
	s_waitcnt vmcnt(1) lgkmcnt(1)
	v_mul_f16_sdwa v7, v5, v0 dst_sel:DWORD dst_unused:UNUSED_PAD src0_sel:DWORD src1_sel:WORD_1
	v_fma_f16 v53, v44, v0, -v7
	v_mul_f16_sdwa v7, v44, v0 dst_sel:DWORD dst_unused:UNUSED_PAD src0_sel:DWORD src1_sel:WORD_1
	v_fma_f16 v54, v5, v0, v7
	s_waitcnt lgkmcnt(0)
	v_mul_f16_sdwa v5, v4, v1 dst_sel:DWORD dst_unused:UNUSED_PAD src0_sel:DWORD src1_sel:WORD_1
	v_fma_f16 v55, v42, v1, -v5
	v_mul_f16_sdwa v5, v42, v1 dst_sel:DWORD dst_unused:UNUSED_PAD src0_sel:DWORD src1_sel:WORD_1
	v_fma_f16 v42, v4, v1, v5
	v_mul_f16_sdwa v4, v81, v2 dst_sel:DWORD dst_unused:UNUSED_PAD src0_sel:DWORD src1_sel:WORD_1
	v_fma_f16 v56, v50, v2, -v4
	v_mul_f16_sdwa v4, v50, v2 dst_sel:DWORD dst_unused:UNUSED_PAD src0_sel:DWORD src1_sel:WORD_1
	v_fma_f16 v50, v81, v2, v4
	ds_read_u16 v4, v26 offset:1664
	ds_read_u16 v60, v26 offset:1768
	;; [unrolled: 1-line block ×8, first 2 shown]
	s_waitcnt lgkmcnt(7)
	v_mul_f16_sdwa v5, v4, v3 dst_sel:DWORD dst_unused:UNUSED_PAD src0_sel:DWORD src1_sel:WORD_1
	v_fma_f16 v85, v49, v3, -v5
	v_mul_f16_sdwa v5, v49, v3 dst_sel:DWORD dst_unused:UNUSED_PAD src0_sel:DWORD src1_sel:WORD_1
	v_fma_f16 v49, v4, v3, v5
	v_mul_f16_sdwa v4, v79, v0 dst_sel:DWORD dst_unused:UNUSED_PAD src0_sel:DWORD src1_sel:WORD_1
	v_fma_f16 v5, v47, v0, -v4
	v_mul_f16_sdwa v4, v47, v0 dst_sel:DWORD dst_unused:UNUSED_PAD src0_sel:DWORD src1_sel:WORD_1
	v_fma_f16 v7, v79, v0, v4
	v_mul_f16_sdwa v0, v80, v1 dst_sel:DWORD dst_unused:UNUSED_PAD src0_sel:DWORD src1_sel:WORD_1
	v_mul_f16_sdwa v4, v46, v1 dst_sel:DWORD dst_unused:UNUSED_PAD src0_sel:DWORD src1_sel:WORD_1
	v_fma_f16 v0, v46, v1, -v0
	v_fma_f16 v1, v80, v1, v4
	s_waitcnt lgkmcnt(0)
	v_mul_f16_sdwa v4, v44, v2 dst_sel:DWORD dst_unused:UNUSED_PAD src0_sel:DWORD src1_sel:WORD_1
	v_mul_f16_sdwa v46, v48, v2 dst_sel:DWORD dst_unused:UNUSED_PAD src0_sel:DWORD src1_sel:WORD_1
	v_fma_f16 v4, v48, v2, -v4
	v_fma_f16 v2, v44, v2, v46
	v_mul_f16_sdwa v44, v60, v3 dst_sel:DWORD dst_unused:UNUSED_PAD src0_sel:DWORD src1_sel:WORD_1
	v_fma_f16 v44, v45, v3, -v44
	v_mul_f16_sdwa v45, v45, v3 dst_sel:DWORD dst_unused:UNUSED_PAD src0_sel:DWORD src1_sel:WORD_1
	v_fma_f16 v3, v60, v3, v45
	s_waitcnt vmcnt(0)
	v_mul_f16_sdwa v45, v63, v65 dst_sel:DWORD dst_unused:UNUSED_PAD src0_sel:DWORD src1_sel:WORD_1
	v_fma_f16 v46, v43, v65, -v45
	v_mul_f16_sdwa v43, v43, v65 dst_sel:DWORD dst_unused:UNUSED_PAD src0_sel:DWORD src1_sel:WORD_1
	v_fma_f16 v47, v63, v65, v43
	v_mul_f16_sdwa v43, v83, v66 dst_sel:DWORD dst_unused:UNUSED_PAD src0_sel:DWORD src1_sel:WORD_1
	v_fma_f16 v48, v38, v66, -v43
	ds_read_u16 v43, v26 offset:2496
	ds_read_u16 v45, v26 offset:2392
	v_mul_f16_sdwa v38, v38, v66 dst_sel:DWORD dst_unused:UNUSED_PAD src0_sel:DWORD src1_sel:WORD_1
	v_fma_f16 v60, v83, v66, v38
	v_mul_f16_sdwa v38, v78, v67 dst_sel:DWORD dst_unused:UNUSED_PAD src0_sel:DWORD src1_sel:WORD_1
	v_fma_f16 v63, v15, v67, -v38
	v_mul_f16_sdwa v15, v15, v67 dst_sel:DWORD dst_unused:UNUSED_PAD src0_sel:DWORD src1_sel:WORD_1
	v_fma_f16 v79, v78, v67, v15
	s_waitcnt lgkmcnt(1)
	v_mul_f16_sdwa v15, v43, v68 dst_sel:DWORD dst_unused:UNUSED_PAD src0_sel:DWORD src1_sel:WORD_1
	v_fma_f16 v78, v41, v68, -v15
	v_mul_f16_sdwa v15, v41, v68 dst_sel:DWORD dst_unused:UNUSED_PAD src0_sel:DWORD src1_sel:WORD_1
	v_mul_f16_sdwa v38, v81, v66 dst_sel:DWORD dst_unused:UNUSED_PAD src0_sel:DWORD src1_sel:WORD_1
	s_waitcnt lgkmcnt(0)
	v_mul_f16_sdwa v41, v45, v67 dst_sel:DWORD dst_unused:UNUSED_PAD src0_sel:DWORD src1_sel:WORD_1
	v_fma_f16 v80, v43, v68, v15
	v_fma_f16 v38, v11, v66, -v38
	v_mul_f16_sdwa v11, v11, v66 dst_sel:DWORD dst_unused:UNUSED_PAD src0_sel:DWORD src1_sel:WORD_1
	v_fma_f16 v43, v14, v67, -v41
	v_mul_f16_sdwa v14, v14, v67 dst_sel:DWORD dst_unused:UNUSED_PAD src0_sel:DWORD src1_sel:WORD_1
	v_mul_f16_sdwa v41, v64, v68 dst_sel:DWORD dst_unused:UNUSED_PAD src0_sel:DWORD src1_sel:WORD_1
	v_fma_f16 v11, v81, v66, v11
	v_fma_f16 v14, v45, v67, v14
	v_fma_f16 v45, v12, v68, -v41
	v_add_f16_e32 v41, v10, v69
	v_add_f16_e32 v66, v82, v58
	;; [unrolled: 1-line block ×18, first 2 shown]
	v_mul_f16_sdwa v15, v84, v65 dst_sel:DWORD dst_unused:UNUSED_PAD src0_sel:DWORD src1_sel:WORD_1
	v_add_f16_e32 v41, v41, v48
	v_add_f16_e32 v66, v66, v60
	v_fma_f16 v15, v13, v65, -v15
	v_mul_f16_sdwa v13, v13, v65 dst_sel:DWORD dst_unused:UNUSED_PAD src0_sel:DWORD src1_sel:WORD_1
	v_mul_f16_sdwa v12, v12, v68 dst_sel:DWORD dst_unused:UNUSED_PAD src0_sel:DWORD src1_sel:WORD_1
	v_add_f16_e32 v41, v41, v63
	v_add_f16_e32 v66, v66, v79
	v_fma_f16 v13, v84, v65, v13
	v_fma_f16 v12, v64, v68, v12
	v_add_f16_e32 v41, v41, v78
	v_add_f16_e32 v64, v69, v78
	v_sub_f16_e32 v65, v69, v78
	v_add_f16_e32 v78, v66, v80
	v_add_f16_e32 v66, v58, v80
	v_sub_f16_e32 v58, v58, v80
	v_mul_f16_e32 v67, 0xb770, v58
	v_mul_f16_e32 v69, 0xba95, v58
	;; [unrolled: 1-line block ×6, first 2 shown]
	v_fma_f16 v68, v64, s10, -v67
	v_fma_f16 v67, v64, s10, v67
	v_fma_f16 v80, v64, s5, -v69
	v_fma_f16 v69, v64, s5, v69
	;; [unrolled: 2-line block ×6, first 2 shown]
	v_add_f16_e32 v64, v10, v68
	v_add_f16_e32 v67, v10, v67
	;; [unrolled: 1-line block ×12, first 2 shown]
	v_mul_f16_e32 v58, 0xb770, v65
	v_mul_f16_e32 v90, 0xba95, v65
	;; [unrolled: 1-line block ×6, first 2 shown]
	v_fma_f16 v89, v66, s10, v58
	v_fma_f16 v58, v66, s10, -v58
	v_fma_f16 v91, v66, s5, v90
	v_fma_f16 v90, v66, s5, -v90
	;; [unrolled: 2-line block ×6, first 2 shown]
	v_add_f16_e32 v66, v82, v89
	v_add_f16_e32 v58, v82, v58
	;; [unrolled: 1-line block ×13, first 2 shown]
	v_sub_f16_e32 v59, v59, v63
	v_add_f16_e32 v63, v57, v79
	v_sub_f16_e32 v57, v57, v79
	v_mul_f16_e32 v79, 0xba95, v57
	v_fma_f16 v98, v82, s5, -v79
	v_add_f16_e32 v64, v98, v64
	v_mul_f16_e32 v98, 0xba95, v59
	v_fma_f16 v79, v82, s5, v79
	v_add_f16_e32 v67, v79, v67
	v_fma_f16 v79, v63, s5, -v98
	v_add_f16_e32 v58, v79, v58
	v_mul_f16_e32 v79, 0xbb7b, v57
	v_fma_f16 v99, v63, s5, v98
	v_fma_f16 v98, v82, s6, -v79
	v_add_f16_e32 v68, v98, v68
	v_mul_f16_e32 v98, 0xbb7b, v59
	v_fma_f16 v79, v82, s6, v79
	v_add_f16_e32 v69, v79, v69
	v_fma_f16 v79, v63, s6, -v98
	v_add_f16_e32 v79, v79, v90
	v_mul_f16_e32 v90, 0xb3a8, v57
	v_add_f16_e32 v66, v99, v66
	v_fma_f16 v99, v63, s6, v98
	v_fma_f16 v98, v82, s11, -v90
	v_add_f16_e32 v80, v98, v80
	v_mul_f16_e32 v98, 0xb3a8, v59
	v_fma_f16 v90, v82, s11, v90
	v_add_f16_e32 v81, v90, v81
	v_fma_f16 v90, v63, s11, -v98
	v_add_f16_e32 v90, v90, v92
	v_mul_f16_e32 v92, 0x394e, v57
	v_add_f16_e32 v89, v99, v89
	;; [unrolled: 10-line block ×3, first 2 shown]
	v_fma_f16 v99, v63, s7, v98
	v_fma_f16 v98, v82, s4, -v94
	v_add_f16_e32 v86, v98, v86
	v_mul_f16_e32 v98, 0x3bf1, v59
	v_fma_f16 v94, v82, s4, v94
	v_add_f16_e32 v87, v94, v87
	v_fma_f16 v94, v63, s4, -v98
	v_mul_f16_e32 v57, 0x3770, v57
	v_add_f16_e32 v94, v94, v96
	v_fma_f16 v96, v82, s10, -v57
	v_mul_f16_e32 v59, 0x3770, v59
	v_fma_f16 v57, v82, s10, v57
	v_add_f16_e32 v88, v96, v88
	v_fma_f16 v96, v63, s10, v59
	v_add_f16_e32 v10, v57, v10
	v_fma_f16 v57, v63, s10, -v59
	v_add_f16_e32 v59, v62, v48
	v_sub_f16_e32 v48, v62, v48
	v_add_f16_e32 v62, v52, v60
	v_sub_f16_e32 v52, v52, v60
	v_mul_f16_e32 v60, 0xbbf1, v52
	v_add_f16_e32 v93, v99, v93
	v_fma_f16 v99, v63, s4, v98
	v_fma_f16 v63, v59, s4, -v60
	v_add_f16_e32 v63, v63, v64
	v_mul_f16_e32 v64, 0xbbf1, v48
	v_add_f16_e32 v57, v57, v65
	v_fma_f16 v65, v62, s4, v64
	v_fma_f16 v64, v62, s4, -v64
	v_fma_f16 v60, v59, s4, v60
	v_add_f16_e32 v58, v64, v58
	v_mul_f16_e32 v64, 0xb3a8, v52
	v_add_f16_e32 v65, v65, v66
	v_add_f16_e32 v60, v60, v67
	v_fma_f16 v66, v59, s11, -v64
	v_mul_f16_e32 v67, 0xb3a8, v48
	v_fma_f16 v64, v59, s11, v64
	v_add_f16_e32 v66, v66, v68
	v_fma_f16 v68, v62, s11, v67
	v_add_f16_e32 v64, v64, v69
	v_fma_f16 v67, v62, s11, -v67
	v_mul_f16_e32 v69, 0x3b7b, v52
	v_add_f16_e32 v67, v67, v79
	v_fma_f16 v79, v59, s6, -v69
	v_fma_f16 v69, v59, s6, v69
	v_add_f16_e32 v69, v69, v81
	v_mul_f16_e32 v81, 0x3770, v52
	v_add_f16_e32 v68, v68, v89
	v_add_f16_e32 v79, v79, v80
	v_mul_f16_e32 v80, 0x3b7b, v48
	v_fma_f16 v89, v59, s10, -v81
	v_fma_f16 v82, v62, s6, v80
	v_fma_f16 v80, v62, s6, -v80
	v_add_f16_e32 v83, v89, v83
	v_mul_f16_e32 v89, 0x3770, v48
	v_fma_f16 v81, v59, s10, v81
	v_add_f16_e32 v80, v80, v90
	v_fma_f16 v90, v62, s10, v89
	v_add_f16_e32 v81, v81, v84
	v_fma_f16 v84, v62, s10, -v89
	v_mul_f16_e32 v89, 0xba95, v52
	v_add_f16_e32 v82, v82, v91
	v_fma_f16 v91, v59, s5, -v89
	v_add_f16_e32 v86, v91, v86
	v_mul_f16_e32 v91, 0xba95, v48
	v_fma_f16 v89, v59, s5, v89
	v_mul_f16_e32 v52, 0xb94e, v52
	v_add_f16_e32 v84, v84, v92
	v_fma_f16 v92, v62, s5, v91
	v_add_f16_e32 v87, v89, v87
	v_fma_f16 v89, v62, s5, -v91
	v_fma_f16 v91, v59, s7, -v52
	v_mul_f16_e32 v48, 0xb94e, v48
	v_add_f16_e32 v88, v91, v88
	v_fma_f16 v91, v62, s7, v48
	v_fma_f16 v48, v62, s7, -v48
	v_fma_f16 v52, v59, s7, v52
	v_add_f16_e32 v48, v48, v57
	v_add_f16_e32 v57, v51, v47
	v_sub_f16_e32 v47, v51, v47
	v_add_f16_e32 v10, v52, v10
	v_add_f16_e32 v52, v61, v46
	v_sub_f16_e32 v46, v61, v46
	v_mul_f16_e32 v51, 0xbb7b, v47
	v_fma_f16 v59, v52, s6, -v51
	v_mul_f16_e32 v61, 0xbb7b, v46
	v_fma_f16 v51, v52, s6, v51
	v_add_f16_e32 v51, v51, v60
	v_fma_f16 v60, v57, s6, -v61
	v_add_f16_e32 v58, v60, v58
	v_mul_f16_e32 v60, 0x394e, v47
	v_fma_f16 v62, v57, s6, v61
	v_fma_f16 v61, v52, s7, -v60
	v_fma_f16 v60, v52, s7, v60
	v_add_f16_e32 v59, v59, v63
	v_mul_f16_e32 v63, 0x394e, v46
	v_add_f16_e32 v60, v60, v64
	v_mul_f16_e32 v64, 0x3770, v47
	v_add_f16_e32 v62, v62, v65
	v_add_f16_e32 v61, v61, v66
	v_fma_f16 v65, v57, s7, v63
	v_fma_f16 v63, v57, s7, -v63
	v_fma_f16 v66, v52, s10, -v64
	v_fma_f16 v64, v52, s10, v64
	v_add_f16_e32 v63, v63, v67
	v_mul_f16_e32 v67, 0x3770, v46
	v_add_f16_e32 v64, v64, v69
	v_mul_f16_e32 v69, 0xbbf1, v47
	v_add_f16_e32 v65, v65, v68
	v_add_f16_e32 v66, v66, v79
	v_fma_f16 v68, v57, s10, v67
	v_fma_f16 v67, v57, s10, -v67
	;; [unrolled: 10-line block ×3, first 2 shown]
	v_fma_f16 v83, v52, s11, -v81
	v_fma_f16 v81, v52, s11, v81
	v_mul_f16_e32 v47, 0x3a95, v47
	v_add_f16_e32 v80, v80, v84
	v_mul_f16_e32 v84, 0x33a8, v46
	v_add_f16_e32 v81, v81, v87
	v_fma_f16 v87, v52, s5, -v47
	v_mul_f16_e32 v46, 0x3a95, v46
	v_add_f16_e32 v87, v87, v88
	v_fma_f16 v88, v57, s5, v46
	v_fma_f16 v47, v52, s5, v47
	v_fma_f16 v46, v57, s5, -v46
	v_add_f16_e32 v52, v54, v49
	v_sub_f16_e32 v49, v54, v49
	v_add_f16_e32 v10, v47, v10
	v_add_f16_e32 v46, v46, v48
	v_add_f16_e32 v47, v53, v85
	v_sub_f16_e32 v48, v53, v85
	v_mul_f16_e32 v53, 0xb94e, v49
	v_add_f16_e32 v83, v83, v86
	v_fma_f16 v86, v57, s11, v84
	v_fma_f16 v84, v57, s11, -v84
	v_fma_f16 v54, v47, s7, -v53
	v_mul_f16_e32 v57, 0xb94e, v48
	v_fma_f16 v53, v47, s7, v53
	v_add_f16_e32 v54, v54, v59
	v_fma_f16 v59, v52, s7, v57
	v_add_f16_e32 v51, v53, v51
	v_fma_f16 v53, v52, s7, -v57
	v_mul_f16_e32 v57, 0x3bf1, v49
	v_add_f16_e32 v53, v53, v58
	v_fma_f16 v58, v47, s4, -v57
	v_add_f16_e32 v58, v58, v61
	v_mul_f16_e32 v61, 0x3bf1, v48
	v_fma_f16 v57, v47, s4, v57
	v_add_f16_e32 v59, v59, v62
	v_fma_f16 v62, v52, s4, v61
	v_add_f16_e32 v57, v57, v60
	v_fma_f16 v60, v52, s4, -v61
	v_mul_f16_e32 v61, 0xba95, v49
	v_add_f16_e32 v62, v62, v65
	v_add_f16_e32 v60, v60, v63
	v_fma_f16 v63, v47, s5, -v61
	v_mul_f16_e32 v65, 0xba95, v48
	v_fma_f16 v61, v47, s5, v61
	v_add_f16_e32 v63, v63, v66
	v_fma_f16 v66, v52, s5, v65
	v_add_f16_e32 v61, v61, v64
	v_fma_f16 v64, v52, s5, -v65
	v_mul_f16_e32 v65, 0x33a8, v49
	v_add_f16_e32 v90, v90, v93
	v_add_f16_e32 v66, v66, v68
	;; [unrolled: 1-line block ×3, first 2 shown]
	v_fma_f16 v67, v47, s11, -v65
	v_mul_f16_e32 v68, 0x33a8, v48
	v_fma_f16 v65, v47, s11, v65
	v_add_f16_e32 v82, v82, v90
	v_add_f16_e32 v67, v67, v79
	v_fma_f16 v79, v52, s11, v68
	v_add_f16_e32 v65, v65, v69
	v_fma_f16 v68, v52, s11, -v68
	v_mul_f16_e32 v69, 0x3770, v49
	v_add_f16_e32 v79, v79, v82
	v_add_f16_e32 v68, v68, v80
	v_fma_f16 v80, v47, s10, -v69
	v_mul_f16_e32 v82, 0x3770, v48
	v_fma_f16 v69, v47, s10, v69
	v_mul_f16_e32 v49, 0xbb7b, v49
	v_add_f16_e32 v80, v80, v83
	v_fma_f16 v83, v52, s10, v82
	v_add_f16_e32 v69, v69, v81
	v_fma_f16 v81, v52, s10, -v82
	v_fma_f16 v82, v47, s6, -v49
	v_mul_f16_e32 v48, 0xbb7b, v48
	v_fma_f16 v47, v47, s6, v49
	v_add_f16_e32 v89, v89, v94
	v_add_f16_e32 v10, v47, v10
	v_fma_f16 v47, v52, s6, -v48
	v_add_f16_e32 v49, v42, v50
	v_sub_f16_e32 v42, v42, v50
	v_add_f16_e32 v84, v84, v89
	v_add_f16_e32 v46, v47, v46
	;; [unrolled: 1-line block ×3, first 2 shown]
	v_mul_f16_e32 v50, 0xb3a8, v42
	v_add_f16_e32 v95, v99, v95
	v_add_f16_e32 v81, v81, v84
	v_fma_f16 v84, v52, s6, v48
	v_sub_f16_e32 v48, v55, v56
	v_fma_f16 v52, v47, s11, -v50
	v_add_f16_e32 v92, v92, v95
	v_add_f16_e32 v52, v52, v54
	v_mul_f16_e32 v54, 0xb3a8, v48
	v_fma_f16 v50, v47, s11, v50
	v_add_f16_e32 v96, v96, v97
	v_add_f16_e32 v86, v86, v92
	;; [unrolled: 1-line block ×3, first 2 shown]
	v_fma_f16 v51, v49, s11, -v54
	v_add_f16_e32 v91, v91, v96
	v_add_f16_e32 v83, v83, v86
	v_fma_f16 v55, v49, s11, v54
	v_add_f16_e32 v86, v51, v53
	v_mul_f16_e32 v51, 0x3770, v42
	v_mul_f16_e32 v54, 0x3770, v48
	v_add_f16_e32 v88, v88, v91
	v_add_f16_e32 v85, v55, v59
	v_fma_f16 v53, v47, s10, -v51
	v_fma_f16 v55, v49, s10, v54
	v_fma_f16 v54, v49, s10, -v54
	v_add_f16_e32 v84, v84, v88
	v_add_f16_e32 v53, v53, v58
	v_fma_f16 v51, v47, s10, v51
	v_add_f16_e32 v88, v54, v60
	v_mul_f16_e32 v54, 0xb94e, v42
	v_mul_f16_e32 v56, 0xb94e, v48
	;; [unrolled: 1-line block ×3, first 2 shown]
	v_add_f16_e32 v82, v82, v87
	v_add_f16_e32 v87, v55, v62
	;; [unrolled: 1-line block ×3, first 2 shown]
	v_fma_f16 v55, v47, s7, -v54
	v_fma_f16 v57, v49, s7, v56
	v_fma_f16 v54, v47, s7, v54
	v_fma_f16 v56, v49, s7, -v56
	v_fma_f16 v59, v49, s5, v58
	v_fma_f16 v58, v49, s5, -v58
	v_mul_f16_e32 v60, 0xbb7b, v48
	v_add_f16_e32 v54, v54, v61
	v_add_f16_e32 v90, v56, v64
	v_mul_f16_e32 v56, 0x3a95, v42
	v_add_f16_e32 v91, v58, v68
	v_mul_f16_e32 v58, 0xbb7b, v42
	v_fma_f16 v61, v49, s6, v60
	v_fma_f16 v60, v49, s6, -v60
	v_mul_f16_e32 v42, 0x3bf1, v42
	v_add_f16_e32 v81, v60, v81
	v_fma_f16 v60, v47, s4, -v42
	v_mul_f16_e32 v48, 0x3bf1, v48
	v_fma_f16 v42, v47, s4, v42
	v_add_f16_e32 v79, v59, v79
	v_fma_f16 v59, v47, s6, -v58
	v_add_f16_e32 v10, v42, v10
	v_fma_f16 v42, v49, s4, -v48
	v_add_f16_e32 v59, v59, v80
	v_add_f16_e32 v80, v61, v83
	;; [unrolled: 1-line block ×3, first 2 shown]
	v_sub_f16_e32 v46, v77, v12
	v_add_f16_e32 v89, v57, v66
	v_fma_f16 v57, v47, s5, -v56
	v_fma_f16 v56, v47, s5, v56
	v_fma_f16 v58, v47, s6, v58
	v_add_f16_e32 v42, v76, v45
	v_mul_f16_e32 v47, 0xb770, v46
	v_add_f16_e32 v58, v58, v69
	v_fma_f16 v61, v49, s4, v48
	v_fma_f16 v48, v42, s10, -v47
	v_mul_f16_e32 v49, 0xba95, v46
	v_mul_f16_e32 v62, 0xbbf1, v46
	;; [unrolled: 1-line block ×5, first 2 shown]
	v_sub_f16_e32 v69, v75, v14
	v_add_f16_e32 v55, v55, v63
	v_add_f16_e32 v57, v57, v67
	;; [unrolled: 1-line block ×5, first 2 shown]
	v_fma_f16 v47, v42, s10, v47
	v_fma_f16 v61, v42, s5, -v49
	v_fma_f16 v49, v42, s5, v49
	v_fma_f16 v63, v42, s4, -v62
	;; [unrolled: 2-line block ×5, first 2 shown]
	v_fma_f16 v42, v42, s11, v46
	v_add_f16_e32 v46, v8, v48
	v_add_f16_e32 v48, v74, v43
	v_mul_f16_e32 v84, 0xba95, v69
	v_fma_f16 v92, v48, s5, -v84
	v_add_f16_e32 v47, v8, v47
	v_fma_f16 v84, v48, s5, v84
	v_add_f16_e32 v47, v84, v47
	v_mul_f16_e32 v84, 0xbb7b, v69
	v_add_f16_e32 v46, v92, v46
	v_fma_f16 v92, v48, s6, -v84
	v_add_f16_e32 v49, v8, v49
	v_fma_f16 v84, v48, s6, v84
	v_add_f16_e32 v61, v8, v61
	v_add_f16_e32 v49, v84, v49
	v_mul_f16_e32 v84, 0xb3a8, v69
	v_add_f16_e32 v61, v92, v61
	v_fma_f16 v92, v48, s11, -v84
	v_add_f16_e32 v62, v8, v62
	v_fma_f16 v84, v48, s11, v84
	v_add_f16_e32 v63, v8, v63
	;; [unrolled: 7-line block ×3, first 2 shown]
	v_add_f16_e32 v64, v84, v64
	v_mul_f16_e32 v84, 0x3bf1, v69
	v_add_f16_e32 v65, v92, v65
	v_fma_f16 v92, v48, s4, -v84
	v_add_f16_e32 v66, v8, v66
	v_fma_f16 v84, v48, s4, v84
	v_mul_f16_e32 v69, 0x3770, v69
	v_add_f16_e32 v66, v84, v66
	v_add_f16_e32 v68, v8, v68
	v_fma_f16 v84, v48, s10, -v69
	v_fma_f16 v48, v48, s10, v69
	v_add_f16_e32 v42, v8, v42
	v_sub_f16_e32 v69, v73, v11
	v_add_f16_e32 v67, v8, v67
	v_add_f16_e32 v68, v84, v68
	v_add_f16_e32 v42, v48, v42
	v_add_f16_e32 v48, v72, v38
	v_mul_f16_e32 v84, 0xbbf1, v69
	v_add_f16_e32 v67, v92, v67
	v_fma_f16 v92, v48, s4, -v84
	v_fma_f16 v84, v48, s4, v84
	v_add_f16_e32 v47, v84, v47
	v_mul_f16_e32 v84, 0xb3a8, v69
	v_add_f16_e32 v46, v92, v46
	v_fma_f16 v92, v48, s11, -v84
	v_fma_f16 v84, v48, s11, v84
	v_add_f16_e32 v49, v84, v49
	v_mul_f16_e32 v84, 0x3b7b, v69
	v_add_f16_e32 v61, v92, v61
	v_fma_f16 v92, v48, s6, -v84
	v_fma_f16 v84, v48, s6, v84
	v_add_f16_e32 v62, v84, v62
	v_mul_f16_e32 v84, 0x3770, v69
	v_add_f16_e32 v63, v92, v63
	v_fma_f16 v92, v48, s10, -v84
	v_fma_f16 v84, v48, s10, v84
	v_add_f16_e32 v64, v84, v64
	v_mul_f16_e32 v84, 0xba95, v69
	v_add_f16_e32 v65, v92, v65
	v_fma_f16 v92, v48, s5, -v84
	v_fma_f16 v84, v48, s5, v84
	v_mul_f16_e32 v69, 0xb94e, v69
	v_add_f16_e32 v66, v84, v66
	v_fma_f16 v84, v48, s7, -v69
	v_fma_f16 v48, v48, s7, v69
	v_sub_f16_e32 v69, v70, v13
	v_add_f16_e32 v68, v84, v68
	v_add_f16_e32 v42, v48, v42
	v_add_f16_e32 v48, v6, v15
	v_mul_f16_e32 v84, 0xbb7b, v69
	v_add_f16_e32 v67, v92, v67
	v_fma_f16 v92, v48, s6, -v84
	v_fma_f16 v84, v48, s6, v84
	v_add_f16_e32 v47, v84, v47
	v_mul_f16_e32 v84, 0x394e, v69
	v_add_f16_e32 v46, v92, v46
	v_fma_f16 v92, v48, s7, -v84
	v_fma_f16 v84, v48, s7, v84
	v_add_f16_e32 v49, v84, v49
	v_mul_f16_e32 v84, 0x3770, v69
	v_add_f16_e32 v61, v92, v61
	v_fma_f16 v92, v48, s10, -v84
	v_fma_f16 v84, v48, s10, v84
	v_add_f16_e32 v62, v84, v62
	v_mul_f16_e32 v84, 0xbbf1, v69
	v_add_f16_e32 v63, v92, v63
	v_fma_f16 v92, v48, s4, -v84
	v_fma_f16 v84, v48, s4, v84
	v_add_f16_e32 v64, v84, v64
	v_mul_f16_e32 v84, 0x33a8, v69
	v_add_f16_e32 v65, v92, v65
	v_fma_f16 v92, v48, s11, -v84
	v_fma_f16 v84, v48, s11, v84
	v_mul_f16_e32 v69, 0x3a95, v69
	v_add_f16_e32 v66, v84, v66
	v_fma_f16 v84, v48, s5, -v69
	v_fma_f16 v48, v48, s5, v69
	v_sub_f16_e32 v69, v7, v3
	v_add_f16_e32 v68, v84, v68
	v_add_f16_e32 v42, v48, v42
	v_add_f16_e32 v48, v5, v44
	;; [unrolled: 32-line block ×3, first 2 shown]
	v_mul_f16_e32 v84, 0xb3a8, v69
	v_add_f16_e32 v67, v92, v67
	v_fma_f16 v92, v48, s11, -v84
	v_fma_f16 v84, v48, s11, v84
	v_add_f16_e32 v47, v84, v47
	v_mul_f16_e32 v84, 0x3770, v69
	v_add_f16_e32 v46, v92, v46
	v_fma_f16 v92, v48, s10, -v84
	v_fma_f16 v84, v48, s10, v84
	v_add_f16_e32 v49, v84, v49
	;; [unrolled: 5-line block ×4, first 2 shown]
	v_mul_f16_e32 v84, 0xbb7b, v69
	v_add_f16_e32 v65, v92, v65
	v_fma_f16 v92, v48, s6, -v84
	v_fma_f16 v84, v48, s6, v84
	v_mul_f16_e32 v69, 0x3bf1, v69
	v_add_f16_e32 v66, v84, v66
	v_fma_f16 v84, v48, s4, -v69
	v_fma_f16 v48, v48, s4, v69
	v_add_f16_e32 v8, v8, v76
	v_add_f16_e32 v42, v48, v42
	v_lshrrev_b32_e32 v48, 1, v18
	v_add_f16_e32 v8, v8, v74
	v_mul_u32_u24_e32 v48, 26, v48
	v_add_f16_e32 v8, v8, v72
	v_or_b32_e32 v48, v48, v9
	v_add_f16_e32 v8, v8, v6
	v_add_f16_e32 v68, v84, v68
	v_lshl_add_u32 v84, v48, 1, 0
	v_add_f16_e32 v8, v8, v5
	s_waitcnt lgkmcnt(0)
	; wave barrier
	ds_write_b16 v84, v41
	ds_write_b16 v84, v52 offset:4
	ds_write_b16 v84, v53 offset:8
	;; [unrolled: 1-line block ×9, first 2 shown]
	v_lshrrev_b32_e32 v10, 1, v25
	v_add_f16_e32 v8, v8, v0
	v_mul_lo_u32 v10, v10, 26
	v_add_f16_e32 v8, v8, v4
	v_add_f16_e32 v8, v8, v44
	;; [unrolled: 1-line block ×4, first 2 shown]
	v_or_b32_e32 v9, v10, v9
	v_add_f16_e32 v8, v8, v43
	v_add_f16_e32 v8, v8, v45
	v_lshl_add_u32 v9, v9, 1, 0
	v_add_f16_e32 v67, v92, v67
	ds_write_b16 v84, v54 offset:40
	ds_write_b16 v84, v51 offset:44
	;; [unrolled: 1-line block ×3, first 2 shown]
	ds_write_b16 v9, v8
	ds_write_b16 v9, v46 offset:4
	ds_write_b16 v9, v61 offset:8
	;; [unrolled: 1-line block ×12, first 2 shown]
	v_add_f16_e32 v8, v71, v77
	v_add_f16_e32 v8, v8, v75
	;; [unrolled: 1-line block ×13, first 2 shown]
	v_sub_f16_e32 v12, v76, v45
	s_waitcnt lgkmcnt(0)
	; wave barrier
	s_waitcnt lgkmcnt(0)
	ds_read_u16 v67, v39
	ds_read_u16 v66, v40
	;; [unrolled: 1-line block ×5, first 2 shown]
	ds_read_u16 v57, v26 offset:312
	ds_read_u16 v56, v26 offset:520
	;; [unrolled: 1-line block ×15, first 2 shown]
	ds_read_u16 v68, v35
	ds_read_u16 v69, v34
	;; [unrolled: 1-line block ×3, first 2 shown]
	ds_read_u16 v47, v26 offset:2600
	ds_read_u16 v60, v26 offset:2496
	;; [unrolled: 1-line block ×3, first 2 shown]
	s_waitcnt lgkmcnt(0)
	; wave barrier
	s_waitcnt lgkmcnt(0)
	ds_write_b16 v84, v78
	ds_write_b16 v84, v85 offset:4
	ds_write_b16 v84, v87 offset:8
	;; [unrolled: 1-line block ×12, first 2 shown]
	v_mul_f16_e32 v45, 0xb770, v12
	v_mul_f16_e32 v77, 0xba95, v12
	;; [unrolled: 1-line block ×6, first 2 shown]
	v_fma_f16 v76, v10, s10, v45
	v_fma_f16 v45, v10, s10, -v45
	v_fma_f16 v78, v10, s5, v77
	v_fma_f16 v77, v10, s5, -v77
	;; [unrolled: 2-line block ×6, first 2 shown]
	v_sub_f16_e32 v43, v74, v43
	v_add_f16_e32 v12, v71, v76
	v_add_f16_e32 v45, v71, v45
	;; [unrolled: 1-line block ×13, first 2 shown]
	v_mul_f16_e32 v71, 0xba95, v43
	v_fma_f16 v74, v14, s5, v71
	v_fma_f16 v71, v14, s5, -v71
	v_add_f16_e32 v45, v71, v45
	v_mul_f16_e32 v71, 0xbb7b, v43
	v_add_f16_e32 v12, v74, v12
	v_fma_f16 v74, v14, s6, v71
	v_fma_f16 v71, v14, s6, -v71
	v_mul_f16_e32 v75, 0xb3a8, v43
	v_add_f16_e32 v74, v74, v76
	v_add_f16_e32 v71, v71, v77
	v_fma_f16 v76, v14, s11, v75
	v_fma_f16 v75, v14, s11, -v75
	v_mul_f16_e32 v77, 0x394e, v43
	v_add_f16_e32 v76, v76, v78
	v_add_f16_e32 v75, v75, v79
	v_fma_f16 v78, v14, s7, v77
	v_fma_f16 v77, v14, s7, -v77
	v_mul_f16_e32 v79, 0x3bf1, v43
	v_mul_f16_e32 v43, 0x3770, v43
	v_add_f16_e32 v78, v78, v80
	v_add_f16_e32 v77, v77, v81
	v_fma_f16 v80, v14, s4, v79
	v_fma_f16 v79, v14, s4, -v79
	v_fma_f16 v81, v14, s10, v43
	v_fma_f16 v14, v14, s10, -v43
	v_add_f16_e32 v10, v14, v10
	v_sub_f16_e32 v14, v72, v38
	v_add_f16_e32 v11, v73, v11
	v_mul_f16_e32 v38, 0xbbf1, v14
	v_fma_f16 v43, v11, s4, v38
	v_add_f16_e32 v12, v43, v12
	v_fma_f16 v38, v11, s4, -v38
	v_mul_f16_e32 v43, 0xb3a8, v14
	v_add_f16_e32 v38, v38, v45
	v_fma_f16 v45, v11, s11, v43
	v_fma_f16 v43, v11, s11, -v43
	v_add_f16_e32 v43, v43, v71
	v_mul_f16_e32 v71, 0x3b7b, v14
	v_fma_f16 v72, v11, s6, v71
	v_fma_f16 v71, v11, s6, -v71
	v_mul_f16_e32 v73, 0x3770, v14
	v_add_f16_e32 v45, v45, v74
	v_add_f16_e32 v71, v71, v75
	v_fma_f16 v74, v11, s10, v73
	v_fma_f16 v73, v11, s10, -v73
	v_mul_f16_e32 v75, 0xba95, v14
	v_mul_f16_e32 v14, 0xb94e, v14
	v_add_f16_e32 v72, v72, v76
	v_add_f16_e32 v73, v73, v77
	v_fma_f16 v76, v11, s5, v75
	v_fma_f16 v75, v11, s5, -v75
	v_fma_f16 v77, v11, s7, v14
	v_fma_f16 v11, v11, s7, -v14
	v_sub_f16_e32 v6, v6, v15
	v_add_f16_e32 v10, v11, v10
	v_add_f16_e32 v11, v70, v13
	v_mul_f16_e32 v13, 0xbb7b, v6
	v_fma_f16 v14, v11, s6, v13
	v_add_f16_e32 v12, v14, v12
	v_fma_f16 v13, v11, s6, -v13
	v_mul_f16_e32 v14, 0x394e, v6
	v_add_f16_e32 v13, v13, v38
	v_fma_f16 v15, v11, s7, v14
	v_fma_f16 v14, v11, s7, -v14
	v_mul_f16_e32 v38, 0x3770, v6
	v_add_f16_e32 v15, v15, v45
	v_add_f16_e32 v14, v14, v43
	v_fma_f16 v43, v11, s10, v38
	v_fma_f16 v38, v11, s10, -v38
	v_mul_f16_e32 v45, 0xbbf1, v6
	v_add_f16_e32 v38, v38, v71
	v_fma_f16 v70, v11, s4, v45
	v_fma_f16 v45, v11, s4, -v45
	v_mul_f16_e32 v71, 0x33a8, v6
	v_mul_f16_e32 v6, 0x3a95, v6
	v_sub_f16_e32 v5, v5, v44
	v_add_f16_e32 v45, v45, v73
	v_fma_f16 v73, v11, s5, v6
	v_fma_f16 v6, v11, s5, -v6
	v_add_f16_e32 v3, v7, v3
	v_mul_f16_e32 v7, 0xb94e, v5
	v_add_f16_e32 v43, v43, v72
	v_fma_f16 v72, v11, s11, v71
	v_fma_f16 v71, v11, s11, -v71
	v_add_f16_e32 v6, v6, v10
	v_fma_f16 v10, v3, s7, v7
	v_fma_f16 v7, v3, s7, -v7
	v_mul_f16_e32 v11, 0x3bf1, v5
	v_add_f16_e32 v10, v10, v12
	v_add_f16_e32 v7, v7, v13
	v_fma_f16 v12, v3, s4, v11
	v_fma_f16 v11, v3, s4, -v11
	v_mul_f16_e32 v13, 0xba95, v5
	v_add_f16_e32 v12, v12, v15
	v_add_f16_e32 v11, v11, v14
	v_fma_f16 v14, v3, s5, v13
	v_fma_f16 v13, v3, s5, -v13
	v_mul_f16_e32 v15, 0x33a8, v5
	v_sub_f16_e32 v0, v0, v4
	v_add_f16_e32 v14, v14, v43
	v_add_f16_e32 v13, v13, v38
	v_fma_f16 v38, v3, s11, v15
	v_fma_f16 v15, v3, s11, -v15
	v_mul_f16_e32 v43, 0x3770, v5
	v_mul_f16_e32 v5, 0xbb7b, v5
	v_add_f16_e32 v1, v1, v2
	v_mul_f16_e32 v2, 0xb3a8, v0
	v_add_f16_e32 v15, v15, v45
	v_fma_f16 v44, v3, s10, v43
	v_fma_f16 v43, v3, s10, -v43
	v_fma_f16 v45, v3, s6, v5
	v_fma_f16 v3, v3, s6, -v5
	;; [unrolled: 2-line block ×3, first 2 shown]
	v_mul_f16_e32 v5, 0x3770, v0
	v_add_f16_e32 v79, v79, v83
	v_add_f16_e32 v74, v74, v78
	;; [unrolled: 1-line block ×4, first 2 shown]
	v_fma_f16 v6, v1, s10, v5
	v_fma_f16 v5, v1, s10, -v5
	v_mul_f16_e32 v7, 0xb94e, v0
	v_add_f16_e32 v80, v80, v82
	v_add_f16_e32 v81, v81, v84
	;; [unrolled: 1-line block ×6, first 2 shown]
	v_fma_f16 v10, v1, s7, v7
	v_fma_f16 v7, v1, s7, -v7
	v_mul_f16_e32 v11, 0x3a95, v0
	v_add_f16_e32 v76, v76, v80
	v_add_f16_e32 v77, v77, v81
	;; [unrolled: 1-line block ×6, first 2 shown]
	v_fma_f16 v12, v1, s5, v11
	v_fma_f16 v11, v1, s5, -v11
	v_mul_f16_e32 v13, 0xbb7b, v0
	v_mul_f16_e32 v0, 0x3bf1, v0
	v_add_f16_e32 v72, v72, v76
	v_add_f16_e32 v73, v73, v77
	;; [unrolled: 1-line block ×6, first 2 shown]
	v_fma_f16 v14, v1, s6, v13
	v_fma_f16 v13, v1, s6, -v13
	v_fma_f16 v15, v1, s4, v0
	v_fma_f16 v0, v1, s4, -v0
	v_subrev_u32_e32 v38, 26, v18
	v_add_f16_e32 v44, v44, v72
	v_add_f16_e32 v45, v45, v73
	;; [unrolled: 1-line block ×4, first 2 shown]
	v_cndmask_b32_e64 v43, v38, v18, s[0:1]
	v_add_f16_e32 v14, v14, v44
	v_add_f16_e32 v15, v15, v45
	ds_write_b16 v9, v8
	ds_write_b16 v9, v4 offset:4
	ds_write_b16 v9, v6 offset:8
	;; [unrolled: 1-line block ×12, first 2 shown]
	v_mul_i32_i24_e32 v0, 12, v43
	v_mov_b32_e32 v1, 0
	v_lshlrev_b64 v[0:1], 2, v[0:1]
	v_mov_b32_e32 v2, s9
	v_add_co_u32_e64 v8, s[2:3], s8, v0
	v_addc_co_u32_e64 v9, s[2:3], v2, v1, s[2:3]
	s_waitcnt lgkmcnt(0)
	; wave barrier
	s_waitcnt lgkmcnt(0)
	global_load_dwordx4 v[4:7], v[8:9], off offset:96
	global_load_dwordx4 v[0:3], v[8:9], off offset:112
	;; [unrolled: 1-line block ×3, first 2 shown]
	s_movk_i32 s2, 0x4f
	v_mul_lo_u16_sdwa v8, v25, s2 dst_sel:DWORD dst_unused:UNUSED_PAD src0_sel:BYTE_0 src1_sel:DWORD
	v_lshrrev_b16_e32 v44, 11, v8
	v_mul_lo_u16_e32 v8, 26, v44
	v_sub_u16_e32 v45, v25, v8
	v_mov_b32_e32 v8, 12
	v_mul_u32_u24_sdwa v8, v45, v8 dst_sel:DWORD dst_unused:UNUSED_PAD src0_sel:BYTE_0 src1_sel:DWORD
	v_lshlrev_b32_e32 v71, 2, v8
	global_load_dwordx4 v[8:11], v71, s[8:9] offset:96
	ds_read_u16 v73, v34
	ds_read_u16 v72, v35
	;; [unrolled: 1-line block ×4, first 2 shown]
	ds_read_u16 v75, v26 offset:2600
	ds_read_u16 v39, v29
	global_load_dwordx4 v[96:99], v71, s[8:9] offset:112
	global_load_dwordx4 v[100:103], v71, s[8:9] offset:128
	v_cmp_lt_u32_e64 s[2:3], 25, v18
	v_lshlrev_b32_e32 v43, 1, v43
	s_waitcnt vmcnt(5) lgkmcnt(5)
	v_mul_f16_sdwa v74, v73, v4 dst_sel:DWORD dst_unused:UNUSED_PAD src0_sel:DWORD src1_sel:WORD_1
	v_fma_f16 v89, v69, v4, -v74
	v_mul_f16_sdwa v69, v69, v4 dst_sel:DWORD dst_unused:UNUSED_PAD src0_sel:DWORD src1_sel:WORD_1
	v_fma_f16 v90, v73, v4, v69
	s_waitcnt lgkmcnt(4)
	v_mul_f16_sdwa v4, v72, v5 dst_sel:DWORD dst_unused:UNUSED_PAD src0_sel:DWORD src1_sel:WORD_1
	v_fma_f16 v85, v68, v5, -v4
	v_mul_f16_sdwa v4, v68, v5 dst_sel:DWORD dst_unused:UNUSED_PAD src0_sel:DWORD src1_sel:WORD_1
	v_fma_f16 v86, v72, v5, v4
	ds_read_u16 v5, v37
	s_waitcnt lgkmcnt(4)
	v_mul_f16_sdwa v4, v70, v6 dst_sel:DWORD dst_unused:UNUSED_PAD src0_sel:DWORD src1_sel:WORD_1
	v_fma_f16 v78, v67, v6, -v4
	v_mul_f16_sdwa v4, v67, v6 dst_sel:DWORD dst_unused:UNUSED_PAD src0_sel:DWORD src1_sel:WORD_1
	v_fma_f16 v80, v70, v6, v4
	s_waitcnt lgkmcnt(3)
	v_mul_f16_sdwa v4, v40, v7 dst_sel:DWORD dst_unused:UNUSED_PAD src0_sel:DWORD src1_sel:WORD_1
	v_fma_f16 v70, v66, v7, -v4
	v_mul_f16_sdwa v4, v66, v7 dst_sel:DWORD dst_unused:UNUSED_PAD src0_sel:DWORD src1_sel:WORD_1
	v_fma_f16 v73, v40, v7, v4
	ds_read_u16 v4, v36
	s_waitcnt vmcnt(4) lgkmcnt(1)
	v_mul_f16_sdwa v6, v5, v0 dst_sel:DWORD dst_unused:UNUSED_PAD src0_sel:DWORD src1_sel:WORD_1
	v_fma_f16 v67, v65, v0, -v6
	v_mul_f16_sdwa v6, v65, v0 dst_sel:DWORD dst_unused:UNUSED_PAD src0_sel:DWORD src1_sel:WORD_1
	v_fma_f16 v68, v5, v0, v6
	ds_read_u16 v5, v26 offset:1456
	s_waitcnt lgkmcnt(1)
	v_mul_f16_sdwa v0, v4, v1 dst_sel:DWORD dst_unused:UNUSED_PAD src0_sel:DWORD src1_sel:WORD_1
	v_fma_f16 v65, v62, v1, -v0
	v_mul_f16_sdwa v0, v62, v1 dst_sel:DWORD dst_unused:UNUSED_PAD src0_sel:DWORD src1_sel:WORD_1
	v_fma_f16 v62, v4, v1, v0
	s_waitcnt lgkmcnt(0)
	v_mul_f16_sdwa v7, v5, v2 dst_sel:DWORD dst_unused:UNUSED_PAD src0_sel:DWORD src1_sel:WORD_1
	v_fma_f16 v66, v63, v2, -v7
	v_mul_f16_sdwa v7, v63, v2 dst_sel:DWORD dst_unused:UNUSED_PAD src0_sel:DWORD src1_sel:WORD_1
	ds_read_u16 v0, v26 offset:1664
	ds_read_u16 v1, v26 offset:520
	;; [unrolled: 1-line block ×6, first 2 shown]
	v_fma_f16 v63, v5, v2, v7
	ds_read_u16 v2, v26 offset:2288
	ds_read_u16 v69, v26 offset:2184
	;; [unrolled: 1-line block ×7, first 2 shown]
	s_waitcnt lgkmcnt(12)
	v_mul_f16_sdwa v40, v0, v3 dst_sel:DWORD dst_unused:UNUSED_PAD src0_sel:DWORD src1_sel:WORD_1
	v_fma_f16 v71, v64, v3, -v40
	v_mul_f16_sdwa v40, v64, v3 dst_sel:DWORD dst_unused:UNUSED_PAD src0_sel:DWORD src1_sel:WORD_1
	v_fma_f16 v74, v0, v3, v40
	s_waitcnt vmcnt(3) lgkmcnt(2)
	v_mul_f16_sdwa v0, v7, v12 dst_sel:DWORD dst_unused:UNUSED_PAD src0_sel:DWORD src1_sel:WORD_1
	v_fma_f16 v82, v61, v12, -v0
	v_mul_f16_sdwa v0, v61, v12 dst_sel:DWORD dst_unused:UNUSED_PAD src0_sel:DWORD src1_sel:WORD_1
	v_fma_f16 v83, v7, v12, v0
	v_mul_f16_sdwa v0, v5, v13 dst_sel:DWORD dst_unused:UNUSED_PAD src0_sel:DWORD src1_sel:WORD_1
	v_fma_f16 v87, v59, v13, -v0
	v_mul_f16_sdwa v0, v59, v13 dst_sel:DWORD dst_unused:UNUSED_PAD src0_sel:DWORD src1_sel:WORD_1
	v_fma_f16 v88, v5, v13, v0
	v_mul_f16_sdwa v0, v2, v14 dst_sel:DWORD dst_unused:UNUSED_PAD src0_sel:DWORD src1_sel:WORD_1
	ds_read_u16 v3, v26 offset:2496
	v_fma_f16 v91, v58, v14, -v0
	v_mul_f16_sdwa v0, v58, v14 dst_sel:DWORD dst_unused:UNUSED_PAD src0_sel:DWORD src1_sel:WORD_1
	v_fma_f16 v92, v2, v14, v0
	ds_read_u16 v2, v26 offset:2392
	ds_read_u16 v5, v26 offset:312
	ds_read_u16 v93, v26
	s_waitcnt lgkmcnt(3)
	v_mul_f16_sdwa v0, v3, v15 dst_sel:DWORD dst_unused:UNUSED_PAD src0_sel:DWORD src1_sel:WORD_1
	v_fma_f16 v94, v60, v15, -v0
	v_mul_f16_sdwa v0, v60, v15 dst_sel:DWORD dst_unused:UNUSED_PAD src0_sel:DWORD src1_sel:WORD_1
	v_fma_f16 v95, v3, v15, v0
	s_waitcnt vmcnt(2) lgkmcnt(1)
	v_mul_f16_sdwa v0, v5, v8 dst_sel:DWORD dst_unused:UNUSED_PAD src0_sel:DWORD src1_sel:WORD_1
	v_fma_f16 v59, v57, v8, -v0
	v_mul_f16_sdwa v0, v57, v8 dst_sel:DWORD dst_unused:UNUSED_PAD src0_sel:DWORD src1_sel:WORD_1
	v_fma_f16 v60, v5, v8, v0
	v_mul_f16_sdwa v0, v1, v9 dst_sel:DWORD dst_unused:UNUSED_PAD src0_sel:DWORD src1_sel:WORD_1
	v_fma_f16 v57, v56, v9, -v0
	v_mul_f16_sdwa v0, v56, v9 dst_sel:DWORD dst_unused:UNUSED_PAD src0_sel:DWORD src1_sel:WORD_1
	v_fma_f16 v58, v1, v9, v0
	;; [unrolled: 4-line block ×3, first 2 shown]
	v_mul_f16_sdwa v0, v6, v11 dst_sel:DWORD dst_unused:UNUSED_PAD src0_sel:DWORD src1_sel:WORD_1
	v_fma_f16 v40, v53, v11, -v0
	v_mul_f16_sdwa v0, v53, v11 dst_sel:DWORD dst_unused:UNUSED_PAD src0_sel:DWORD src1_sel:WORD_1
	s_waitcnt vmcnt(1)
	v_mul_f16_sdwa v3, v77, v98 dst_sel:DWORD dst_unused:UNUSED_PAD src0_sel:DWORD src1_sel:WORD_1
	v_fma_f16 v53, v6, v11, v0
	v_mul_f16_sdwa v0, v36, v96 dst_sel:DWORD dst_unused:UNUSED_PAD src0_sel:DWORD src1_sel:WORD_1
	v_fma_f16 v5, v54, v98, -v3
	v_mul_f16_sdwa v3, v54, v98 dst_sel:DWORD dst_unused:UNUSED_PAD src0_sel:DWORD src1_sel:WORD_1
	v_fma_f16 v7, v52, v96, -v0
	v_mul_f16_sdwa v0, v52, v96 dst_sel:DWORD dst_unused:UNUSED_PAD src0_sel:DWORD src1_sel:WORD_1
	v_fma_f16 v6, v77, v98, v3
	v_mul_f16_sdwa v3, v76, v99 dst_sel:DWORD dst_unused:UNUSED_PAD src0_sel:DWORD src1_sel:WORD_1
	v_fma_f16 v8, v36, v96, v0
	v_mul_f16_sdwa v1, v50, v97 dst_sel:DWORD dst_unused:UNUSED_PAD src0_sel:DWORD src1_sel:WORD_1
	v_fma_f16 v36, v51, v99, -v3
	v_mul_f16_sdwa v3, v51, v99 dst_sel:DWORD dst_unused:UNUSED_PAD src0_sel:DWORD src1_sel:WORD_1
	v_mul_f16_sdwa v0, v37, v97 dst_sel:DWORD dst_unused:UNUSED_PAD src0_sel:DWORD src1_sel:WORD_1
	v_fma_f16 v1, v37, v97, v1
	v_fma_f16 v37, v76, v99, v3
	s_waitcnt vmcnt(0)
	v_mul_f16_sdwa v3, v72, v100 dst_sel:DWORD dst_unused:UNUSED_PAD src0_sel:DWORD src1_sel:WORD_1
	v_fma_f16 v0, v50, v97, -v0
	v_fma_f16 v50, v48, v100, -v3
	v_mul_f16_sdwa v3, v48, v100 dst_sel:DWORD dst_unused:UNUSED_PAD src0_sel:DWORD src1_sel:WORD_1
	v_fma_f16 v48, v72, v100, v3
	v_mul_f16_sdwa v3, v69, v101 dst_sel:DWORD dst_unused:UNUSED_PAD src0_sel:DWORD src1_sel:WORD_1
	v_fma_f16 v51, v46, v101, -v3
	v_mul_f16_sdwa v3, v46, v101 dst_sel:DWORD dst_unused:UNUSED_PAD src0_sel:DWORD src1_sel:WORD_1
	v_fma_f16 v52, v69, v101, v3
	v_mul_f16_sdwa v3, v2, v102 dst_sel:DWORD dst_unused:UNUSED_PAD src0_sel:DWORD src1_sel:WORD_1
	;; [unrolled: 4-line block ×3, first 2 shown]
	v_fma_f16 v64, v47, v103, -v2
	v_mul_f16_sdwa v2, v47, v103 dst_sel:DWORD dst_unused:UNUSED_PAD src0_sel:DWORD src1_sel:WORD_1
	v_sub_f16_e32 v3, v90, v95
	v_fma_f16 v69, v75, v103, v2
	v_add_f16_e32 v2, v89, v94
	v_mul_f16_e32 v4, 0xb770, v3
	v_fma_f16 v9, v2, s10, -v4
	v_mul_f16_e32 v10, 0xba95, v3
	v_mul_f16_e32 v12, 0xbbf1, v3
	v_mul_f16_e32 v14, 0xbb7b, v3
	v_mul_f16_e32 v46, 0xb94e, v3
	v_mul_f16_e32 v3, 0xb3a8, v3
	v_sub_f16_e32 v72, v86, v92
	v_fma_f16 v4, v2, s10, v4
	v_fma_f16 v11, v2, s5, -v10
	v_fma_f16 v10, v2, s5, v10
	v_fma_f16 v13, v2, s4, -v12
	;; [unrolled: 2-line block ×5, first 2 shown]
	v_fma_f16 v2, v2, s11, v3
	v_add_f16_e32 v3, v42, v9
	v_add_f16_e32 v9, v85, v91
	v_mul_f16_e32 v75, 0xba95, v72
	v_fma_f16 v76, v9, s5, -v75
	v_add_f16_e32 v4, v42, v4
	v_fma_f16 v75, v9, s5, v75
	v_add_f16_e32 v4, v75, v4
	v_mul_f16_e32 v75, 0xbb7b, v72
	v_add_f16_e32 v3, v76, v3
	v_fma_f16 v76, v9, s6, -v75
	v_add_f16_e32 v10, v42, v10
	v_fma_f16 v75, v9, s6, v75
	v_add_f16_e32 v11, v42, v11
	v_add_f16_e32 v10, v75, v10
	v_mul_f16_e32 v75, 0xb3a8, v72
	v_add_f16_e32 v11, v76, v11
	v_fma_f16 v76, v9, s11, -v75
	v_add_f16_e32 v12, v42, v12
	v_fma_f16 v75, v9, s11, v75
	v_add_f16_e32 v13, v42, v13
	;; [unrolled: 7-line block ×3, first 2 shown]
	v_add_f16_e32 v14, v75, v14
	v_mul_f16_e32 v75, 0x3bf1, v72
	v_add_f16_e32 v15, v76, v15
	v_fma_f16 v76, v9, s4, -v75
	v_add_f16_e32 v46, v42, v46
	v_fma_f16 v75, v9, s4, v75
	v_mul_f16_e32 v72, 0x3770, v72
	v_add_f16_e32 v46, v75, v46
	v_add_f16_e32 v61, v42, v61
	v_fma_f16 v75, v9, s10, -v72
	v_fma_f16 v9, v9, s10, v72
	v_add_f16_e32 v2, v42, v2
	v_sub_f16_e32 v72, v80, v88
	v_add_f16_e32 v47, v42, v47
	v_add_f16_e32 v61, v75, v61
	;; [unrolled: 1-line block ×4, first 2 shown]
	v_mul_f16_e32 v75, 0xbbf1, v72
	v_add_f16_e32 v47, v76, v47
	v_fma_f16 v76, v9, s4, -v75
	v_fma_f16 v75, v9, s4, v75
	v_add_f16_e32 v4, v75, v4
	v_mul_f16_e32 v75, 0xb3a8, v72
	v_add_f16_e32 v3, v76, v3
	v_fma_f16 v76, v9, s11, -v75
	v_fma_f16 v75, v9, s11, v75
	v_add_f16_e32 v10, v75, v10
	v_mul_f16_e32 v75, 0x3b7b, v72
	v_add_f16_e32 v11, v76, v11
	v_fma_f16 v76, v9, s6, -v75
	v_fma_f16 v75, v9, s6, v75
	v_add_f16_e32 v12, v75, v12
	v_mul_f16_e32 v75, 0x3770, v72
	v_add_f16_e32 v13, v76, v13
	v_fma_f16 v76, v9, s10, -v75
	v_fma_f16 v75, v9, s10, v75
	v_add_f16_e32 v14, v75, v14
	v_mul_f16_e32 v75, 0xba95, v72
	v_add_f16_e32 v15, v76, v15
	v_fma_f16 v76, v9, s5, -v75
	v_fma_f16 v75, v9, s5, v75
	v_mul_f16_e32 v72, 0xb94e, v72
	v_add_f16_e32 v46, v75, v46
	v_fma_f16 v75, v9, s7, -v72
	v_fma_f16 v9, v9, s7, v72
	v_sub_f16_e32 v72, v73, v83
	v_add_f16_e32 v61, v75, v61
	v_add_f16_e32 v2, v9, v2
	v_add_f16_e32 v9, v70, v82
	v_mul_f16_e32 v75, 0xbb7b, v72
	v_add_f16_e32 v47, v76, v47
	v_fma_f16 v76, v9, s6, -v75
	v_fma_f16 v75, v9, s6, v75
	v_add_f16_e32 v4, v75, v4
	v_mul_f16_e32 v75, 0x394e, v72
	v_add_f16_e32 v3, v76, v3
	v_fma_f16 v76, v9, s7, -v75
	v_fma_f16 v75, v9, s7, v75
	v_add_f16_e32 v10, v75, v10
	v_mul_f16_e32 v75, 0x3770, v72
	v_add_f16_e32 v11, v76, v11
	v_fma_f16 v76, v9, s10, -v75
	v_fma_f16 v75, v9, s10, v75
	v_add_f16_e32 v12, v75, v12
	v_mul_f16_e32 v75, 0xbbf1, v72
	v_add_f16_e32 v13, v76, v13
	v_fma_f16 v76, v9, s4, -v75
	v_fma_f16 v75, v9, s4, v75
	v_add_f16_e32 v14, v75, v14
	v_mul_f16_e32 v75, 0x33a8, v72
	v_add_f16_e32 v15, v76, v15
	v_fma_f16 v76, v9, s11, -v75
	v_fma_f16 v75, v9, s11, v75
	v_mul_f16_e32 v72, 0x3a95, v72
	v_add_f16_e32 v46, v75, v46
	v_fma_f16 v75, v9, s5, -v72
	v_fma_f16 v9, v9, s5, v72
	v_sub_f16_e32 v72, v68, v74
	v_add_f16_e32 v61, v75, v61
	v_add_f16_e32 v2, v9, v2
	v_add_f16_e32 v9, v67, v71
	;; [unrolled: 32-line block ×4, first 2 shown]
	v_mul_f16_e32 v75, 0xbbf1, v72
	v_sub_f16_e32 v79, v58, v49
	v_add_f16_e32 v47, v76, v47
	v_fma_f16 v76, v2, s4, -v75
	v_add_f16_e32 v77, v57, v54
	v_mul_f16_e32 v81, 0xb3a8, v79
	v_fma_f16 v75, v2, s4, v75
	v_fma_f16 v84, v77, s11, -v81
	v_add_f16_e32 v75, v41, v75
	v_fma_f16 v81, v77, s11, v81
	v_add_f16_e32 v76, v41, v76
	v_add_f16_e32 v75, v81, v75
	v_mul_f16_e32 v81, 0xbb7b, v72
	v_add_f16_e32 v76, v84, v76
	v_fma_f16 v84, v2, s6, -v81
	v_mul_f16_e32 v96, 0x394e, v79
	v_fma_f16 v81, v2, s6, v81
	v_fma_f16 v97, v77, s7, -v96
	v_add_f16_e32 v81, v41, v81
	v_fma_f16 v96, v77, s7, v96
	v_add_f16_e32 v84, v41, v84
	v_add_f16_e32 v81, v96, v81
	v_mul_f16_e32 v96, 0xb94e, v72
	v_add_f16_e32 v84, v97, v84
	v_fma_f16 v97, v2, s7, -v96
	;; [unrolled: 10-line block ×3, first 2 shown]
	v_mul_f16_e32 v100, 0x3770, v79
	v_add_f16_e32 v99, v41, v99
	v_fma_f16 v101, v77, s10, -v100
	v_fma_f16 v98, v2, s11, v98
	v_add_f16_e32 v99, v101, v99
	v_add_f16_e32 v98, v41, v98
	v_fma_f16 v100, v77, s10, v100
	v_sub_f16_e32 v101, v55, v52
	v_add_f16_e32 v98, v100, v98
	v_add_f16_e32 v100, v56, v51
	v_mul_f16_e32 v102, 0x3b7b, v101
	v_fma_f16 v103, v100, s6, -v102
	v_fma_f16 v102, v100, s6, v102
	v_add_f16_e32 v75, v102, v75
	v_mul_f16_e32 v102, 0x3770, v101
	v_add_f16_e32 v76, v103, v76
	v_fma_f16 v103, v100, s10, -v102
	v_fma_f16 v102, v100, s10, v102
	v_add_f16_e32 v81, v102, v81
	v_mul_f16_e32 v102, 0xba95, v101
	v_add_f16_e32 v84, v103, v84
	v_fma_f16 v103, v100, s5, -v102
	v_fma_f16 v102, v100, s5, v102
	v_add_f16_e32 v96, v102, v96
	v_mul_f16_e32 v102, 0xb94e, v101
	v_add_f16_e32 v97, v103, v97
	v_fma_f16 v103, v100, s7, -v102
	v_add_f16_e32 v99, v103, v99
	v_fma_f16 v102, v100, s7, v102
	v_sub_f16_e32 v103, v53, v48
	v_add_f16_e32 v98, v102, v98
	v_add_f16_e32 v102, v40, v50
	v_mul_f16_e32 v104, 0x3770, v103
	v_fma_f16 v105, v102, s10, -v104
	v_fma_f16 v104, v102, s10, v104
	v_add_f16_e32 v75, v104, v75
	v_mul_f16_e32 v104, 0xbbf1, v103
	v_add_f16_e32 v76, v105, v76
	v_fma_f16 v105, v102, s4, -v104
	v_fma_f16 v104, v102, s4, v104
	v_add_f16_e32 v81, v104, v81
	v_mul_f16_e32 v104, 0x33a8, v103
	v_add_f16_e32 v84, v105, v84
	v_fma_f16 v105, v102, s11, -v104
	v_fma_f16 v104, v102, s11, v104
	v_add_f16_e32 v96, v104, v96
	v_mul_f16_e32 v104, 0x3a95, v103
	v_add_f16_e32 v97, v105, v97
	v_fma_f16 v105, v102, s5, -v104
	;; [unrolled: 22-line block ×3, first 2 shown]
	v_fma_f16 v106, v104, s6, v106
	v_pk_mul_f16 v72, v72, s19 op_sel_hi:[0,1]
	v_add_f16_e32 v98, v106, v98
	v_pk_fma_f16 v106, v2, s16, v72 op_sel_hi:[0,1,1] neg_lo:[0,0,1] neg_hi:[0,0,1]
	v_pk_fma_f16 v2, v2, s16, v72 op_sel_hi:[0,1,1]
	v_pk_mul_f16 v79, v79, s20 op_sel_hi:[0,1]
	v_add_f16_e32 v99, v107, v99
	v_pk_fma_f16 v107, v77, s17, v79 op_sel_hi:[0,1,1] neg_lo:[0,0,1] neg_hi:[0,0,1]
	v_pk_fma_f16 v77, v77, s17, v79 op_sel_hi:[0,1,1]
	v_pk_add_f16 v2, v41, v2 op_sel_hi:[0,1]
	v_pk_add_f16 v2, v77, v2
	v_pk_mul_f16 v77, v101, s23 op_sel_hi:[0,1]
	v_pk_fma_f16 v79, v100, s18, v77 op_sel_hi:[0,1,1] neg_lo:[0,0,1] neg_hi:[0,0,1]
	v_pk_fma_f16 v77, v100, s18, v77 op_sel_hi:[0,1,1]
	v_add_f16_sdwa v72, v41, v106 dst_sel:DWORD dst_unused:UNUSED_PAD src0_sel:DWORD src1_sel:WORD_1
	v_add_f16_e32 v106, v41, v106
	v_pk_add_f16 v2, v77, v2
	v_pk_mul_f16 v77, v103, s24 op_sel_hi:[0,1]
	v_add_f16_sdwa v72, v107, v72 dst_sel:DWORD dst_unused:UNUSED_PAD src0_sel:WORD_1 src1_sel:DWORD
	v_add_f16_e32 v106, v107, v106
	v_pk_fma_f16 v100, v102, s21, v77 op_sel_hi:[0,1,1] neg_lo:[0,0,1] neg_hi:[0,0,1]
	v_pk_fma_f16 v77, v102, s21, v77 op_sel_hi:[0,1,1]
	v_add_f16_sdwa v72, v79, v72 dst_sel:DWORD dst_unused:UNUSED_PAD src0_sel:WORD_1 src1_sel:DWORD
	v_add_f16_e32 v79, v79, v106
	v_pk_add_f16 v2, v77, v2
	v_pk_mul_f16 v77, v105, s26 op_sel_hi:[0,1]
	v_add_f16_sdwa v72, v100, v72 dst_sel:DWORD dst_unused:UNUSED_PAD src0_sel:WORD_1 src1_sel:DWORD
	v_add_f16_e32 v79, v100, v79
	v_pk_fma_f16 v100, v104, s22, v77 op_sel_hi:[0,1,1] neg_lo:[0,0,1] neg_hi:[0,0,1]
	v_add_f16_sdwa v72, v100, v72 dst_sel:DWORD dst_unused:UNUSED_PAD src0_sel:WORD_1 src1_sel:DWORD
	v_add_f16_e32 v79, v100, v79
	v_pk_fma_f16 v77, v104, s22, v77 op_sel_hi:[0,1,1]
	v_sub_f16_e32 v100, v1, v6
	v_pk_add_f16 v2, v77, v2
	v_add_f16_e32 v77, v0, v5
	v_pk_mul_f16 v101, v100, s27 op_sel_hi:[0,1]
	v_pk_fma_f16 v102, v77, s25, v101 op_sel_hi:[0,1,1] neg_lo:[0,0,1] neg_hi:[0,0,1]
	v_pk_fma_f16 v101, v77, s25, v101 op_sel_hi:[0,1,1]
	v_add_f16_e32 v42, v42, v89
	v_pk_add_f16 v2, v101, v2
	v_mul_f16_e32 v101, 0xb94e, v100
	v_add_f16_e32 v42, v42, v85
	v_add_f16_sdwa v72, v102, v72 dst_sel:DWORD dst_unused:UNUSED_PAD src0_sel:WORD_1 src1_sel:DWORD
	v_add_f16_e32 v79, v102, v79
	v_fma_f16 v102, v77, s7, -v101
	v_fma_f16 v101, v77, s7, v101
	v_add_f16_e32 v42, v42, v78
	v_add_f16_e32 v75, v101, v75
	v_mul_f16_e32 v101, 0x3a95, v100
	v_add_f16_e32 v42, v42, v70
	v_add_f16_e32 v76, v102, v76
	v_fma_f16 v102, v77, s5, -v101
	v_fma_f16 v101, v77, s5, v101
	v_add_f16_e32 v42, v42, v67
	v_add_f16_e32 v81, v101, v81
	v_mul_f16_e32 v101, 0xbb7b, v100
	v_add_f16_e32 v42, v42, v65
	v_add_f16_e32 v84, v102, v84
	v_fma_f16 v102, v77, s6, -v101
	v_add_f16_e32 v42, v42, v66
	v_add_f16_e32 v102, v102, v97
	v_fma_f16 v97, v77, s6, v101
	v_add_f16_e32 v42, v42, v71
	v_add_f16_e32 v101, v97, v96
	v_mul_f16_e32 v96, 0x3bf1, v100
	v_add_f16_e32 v42, v42, v82
	v_fma_f16 v97, v77, s4, -v96
	v_fma_f16 v77, v77, s4, v96
	v_mov_b32_e32 v96, 0x2a4
	v_add_f16_e32 v42, v42, v87
	v_cndmask_b32_e64 v96, 0, v96, s[2:3]
	v_add_f16_e32 v42, v42, v91
	v_add3_u32 v96, 0, v96, v43
	v_add_f16_e32 v42, v42, v94
	s_waitcnt lgkmcnt(0)
	; wave barrier
	s_waitcnt lgkmcnt(0)
	ds_write_b16 v96, v42
	ds_write_b16 v96, v3 offset:52
	ds_write_b16 v96, v11 offset:104
	;; [unrolled: 1-line block ×12, first 2 shown]
	v_mov_b32_e32 v3, 1
	v_lshlrev_b32_sdwa v3, v3, v45 dst_sel:DWORD dst_unused:UNUSED_PAD src0_sel:DWORD src1_sel:BYTE_0
	v_mul_u32_u24_e32 v4, 0x2a4, v44
	v_add_f16_e32 v99, v97, v99
	v_add3_u32 v97, 0, v4, v3
	v_add_f16_e32 v3, v41, v59
	v_add_f16_e32 v3, v3, v57
	;; [unrolled: 1-line block ×13, first 2 shown]
	ds_write_b16 v97, v3
	ds_write_b16 v97, v72 offset:52
	ds_write_b16 v97, v79 offset:104
	;; [unrolled: 1-line block ×11, first 2 shown]
	ds_write_b16_d16_hi v97, v2 offset:624
	s_waitcnt lgkmcnt(0)
	; wave barrier
	s_waitcnt lgkmcnt(0)
	ds_read_u16 v61, v35
	ds_read_u16 v35, v26 offset:2236
	ds_read_u16 v9, v26
	ds_read_u16 v10, v26 offset:676
	ds_read_u16 v13, v26 offset:780
	;; [unrolled: 1-line block ×11, first 2 shown]
	v_lshl_add_u32 v99, v21, 1, 0
	v_lshl_add_u32 v98, v23, 1, 0
	ds_read_u16 v42, v34
	ds_read_u16 v76, v98
	ds_read_u16 v12, v26 offset:1352
	ds_read_u16 v79, v26 offset:1196
	;; [unrolled: 1-line block ×5, first 2 shown]
	ds_read_u16 v47, v99
	ds_read_u16 v15, v29
	ds_read_u16 v81, v26 offset:2548
	v_sub_u32_e32 v3, 0, v33
	v_add_u32_e32 v32, v32, v3
	v_sub_u32_e32 v33, 0, v30
	v_sub_u32_e32 v30, 0, v31
                                        ; implicit-def: $vgpr3
                                        ; implicit-def: $vgpr4
	s_and_saveexec_b64 s[2:3], s[0:1]
	s_cbranch_execz .LBB0_15
; %bb.14:
	ds_read_u16 v2, v26 offset:1300
	ds_read_u16 v3, v26 offset:1976
	ds_read_u16 v31, v32
	ds_read_u16 v4, v26 offset:2652
	s_mov_b32 s28, 0x5040100
	s_waitcnt lgkmcnt(1)
	v_perm_b32 v2, v2, v31, s28
.LBB0_15:
	s_or_b64 exec, exec, s[2:3]
	v_add_f16_e32 v31, v93, v90
	v_add_f16_e32 v31, v31, v86
	;; [unrolled: 1-line block ×10, first 2 shown]
	v_sub_f16_e32 v89, v89, v94
	v_add_f16_e32 v31, v31, v92
	v_add_f16_e32 v90, v90, v95
	v_mul_f16_e32 v94, 0xb770, v89
	v_mul_f16_e32 v100, 0xba95, v89
	;; [unrolled: 1-line block ×6, first 2 shown]
	v_sub_f16_e32 v85, v85, v91
	v_add_f16_e32 v31, v31, v95
	v_fma_f16 v95, v90, s10, v94
	v_fma_f16 v94, v90, s10, -v94
	v_fma_f16 v101, v90, s5, v100
	v_fma_f16 v100, v90, s5, -v100
	;; [unrolled: 2-line block ×6, first 2 shown]
	v_add_f16_e32 v86, v86, v92
	v_mul_f16_e32 v90, 0xba95, v85
	v_add_f16_e32 v94, v93, v94
	v_fma_f16 v91, v86, s5, v90
	v_fma_f16 v90, v86, s5, -v90
	v_mul_f16_e32 v92, 0xbb7b, v85
	v_add_f16_e32 v95, v93, v95
	v_add_f16_e32 v101, v93, v101
	v_add_f16_e32 v100, v93, v100
	v_add_f16_e32 v103, v93, v103
	v_add_f16_e32 v102, v93, v102
	v_add_f16_e32 v105, v93, v105
	v_add_f16_e32 v104, v93, v104
	v_add_f16_e32 v107, v93, v107
	v_add_f16_e32 v106, v93, v106
	v_add_f16_e32 v108, v93, v108
	v_add_f16_e32 v89, v93, v89
	v_add_f16_e32 v90, v90, v94
	v_fma_f16 v93, v86, s6, v92
	v_fma_f16 v92, v86, s6, -v92
	v_mul_f16_e32 v94, 0xb3a8, v85
	v_add_f16_e32 v91, v91, v95
	v_add_f16_e32 v92, v92, v100
	v_fma_f16 v95, v86, s11, v94
	v_fma_f16 v94, v86, s11, -v94
	v_mul_f16_e32 v100, 0x394e, v85
	v_add_f16_e32 v93, v93, v101
	v_add_f16_e32 v94, v94, v102
	v_fma_f16 v101, v86, s7, v100
	v_fma_f16 v100, v86, s7, -v100
	v_mul_f16_e32 v102, 0x3bf1, v85
	v_mul_f16_e32 v85, 0x3770, v85
	v_sub_f16_e32 v78, v78, v87
	v_add_f16_e32 v95, v95, v103
	v_add_f16_e32 v100, v100, v104
	v_fma_f16 v103, v86, s4, v102
	v_fma_f16 v102, v86, s4, -v102
	v_fma_f16 v104, v86, s10, v85
	v_fma_f16 v85, v86, s10, -v85
	v_add_f16_e32 v80, v80, v88
	v_mul_f16_e32 v86, 0xbbf1, v78
	v_fma_f16 v87, v80, s4, v86
	v_fma_f16 v86, v80, s4, -v86
	v_mul_f16_e32 v88, 0xb3a8, v78
	v_add_f16_e32 v85, v85, v89
	v_add_f16_e32 v86, v86, v90
	v_fma_f16 v89, v80, s11, v88
	v_fma_f16 v88, v80, s11, -v88
	v_mul_f16_e32 v90, 0x3b7b, v78
	v_add_f16_e32 v87, v87, v91
	v_add_f16_e32 v88, v88, v92
	;; [unrolled: 5-line block ×3, first 2 shown]
	v_fma_f16 v93, v80, s10, v92
	v_fma_f16 v92, v80, s10, -v92
	v_mul_f16_e32 v94, 0xba95, v78
	v_mul_f16_e32 v78, 0xb94e, v78
	v_sub_f16_e32 v70, v70, v82
	v_add_f16_e32 v91, v91, v95
	v_add_f16_e32 v92, v92, v100
	v_fma_f16 v95, v80, s5, v94
	v_fma_f16 v94, v80, s5, -v94
	v_fma_f16 v100, v80, s7, v78
	v_fma_f16 v78, v80, s7, -v78
	v_add_f16_e32 v73, v73, v83
	v_mul_f16_e32 v80, 0xbb7b, v70
	v_fma_f16 v82, v73, s6, v80
	v_fma_f16 v80, v73, s6, -v80
	v_mul_f16_e32 v83, 0x394e, v70
	v_add_f16_e32 v78, v78, v85
	v_add_f16_e32 v80, v80, v86
	v_fma_f16 v85, v73, s7, v83
	v_fma_f16 v83, v73, s7, -v83
	v_mul_f16_e32 v86, 0x3770, v70
	v_add_f16_e32 v82, v82, v87
	v_add_f16_e32 v83, v83, v88
	v_fma_f16 v87, v73, s10, v86
	v_fma_f16 v86, v73, s10, -v86
	v_mul_f16_e32 v88, 0xbbf1, v70
	v_sub_f16_e32 v67, v67, v71
	v_add_f16_e32 v85, v85, v89
	v_add_f16_e32 v86, v86, v90
	v_fma_f16 v89, v73, s4, v88
	v_fma_f16 v88, v73, s4, -v88
	v_mul_f16_e32 v90, 0x33a8, v70
	v_mul_f16_e32 v70, 0x3a95, v70
	v_add_f16_e32 v68, v68, v74
	v_mul_f16_e32 v71, 0xb94e, v67
	v_add_f16_e32 v87, v87, v91
	v_add_f16_e32 v88, v88, v92
	v_fma_f16 v91, v73, s11, v90
	v_fma_f16 v90, v73, s11, -v90
	v_fma_f16 v92, v73, s5, v70
	v_fma_f16 v70, v73, s5, -v70
	;; [unrolled: 2-line block ×3, first 2 shown]
	v_mul_f16_e32 v74, 0x3bf1, v67
	v_add_f16_e32 v70, v70, v78
	v_add_f16_e32 v71, v71, v80
	v_fma_f16 v78, v68, s4, v74
	v_fma_f16 v74, v68, s4, -v74
	v_mul_f16_e32 v80, 0xba95, v67
	v_add_f16_e32 v73, v73, v82
	v_add_f16_e32 v74, v74, v83
	v_fma_f16 v82, v68, s5, v80
	v_fma_f16 v80, v68, s5, -v80
	v_mul_f16_e32 v83, 0x33a8, v67
	v_add_f16_e32 v62, v62, v63
	v_sub_f16_e32 v63, v65, v66
	v_add_f16_e32 v78, v78, v85
	v_add_f16_e32 v80, v80, v86
	v_fma_f16 v85, v68, s11, v83
	v_fma_f16 v83, v68, s11, -v83
	v_mul_f16_e32 v86, 0x3770, v67
	v_mul_f16_e32 v67, 0xbb7b, v67
	;; [unrolled: 1-line block ×3, first 2 shown]
	v_add_f16_e32 v82, v82, v87
	v_add_f16_e32 v83, v83, v88
	v_fma_f16 v87, v68, s10, v86
	v_fma_f16 v86, v68, s10, -v86
	v_fma_f16 v88, v68, s6, v67
	v_fma_f16 v67, v68, s6, -v67
	;; [unrolled: 2-line block ×3, first 2 shown]
	v_mul_f16_e32 v68, 0x3770, v63
	v_add_f16_e32 v67, v67, v70
	v_add_f16_e32 v65, v65, v71
	v_fma_f16 v70, v62, s10, v68
	v_fma_f16 v68, v62, s10, -v68
	v_mul_f16_e32 v71, 0xb94e, v63
	v_add_f16_e32 v66, v66, v73
	v_add_f16_e32 v68, v68, v74
	v_fma_f16 v73, v62, s7, v71
	v_fma_f16 v71, v62, s7, -v71
	v_mul_f16_e32 v74, 0x3a95, v63
	v_add_f16_e32 v70, v70, v78
	v_add_f16_e32 v71, v71, v80
	v_fma_f16 v78, v62, s5, v74
	v_fma_f16 v74, v62, s5, -v74
	v_mul_f16_e32 v80, 0xbb7b, v63
	v_mul_f16_e32 v63, 0x3bf1, v63
	v_add_f16_e32 v73, v73, v82
	v_add_f16_e32 v74, v74, v83
	v_fma_f16 v82, v62, s6, v80
	v_fma_f16 v80, v62, s6, -v80
	v_fma_f16 v83, v62, s4, v63
	v_fma_f16 v62, v62, s4, -v63
	v_add_f16_e32 v63, v39, v60
	v_add_f16_e32 v63, v63, v58
	;; [unrolled: 1-line block ×10, first 2 shown]
	v_sub_f16_e32 v59, v59, v64
	v_add_f16_e32 v102, v102, v106
	v_add_f16_e32 v104, v104, v108
	v_add_f16_e32 v93, v93, v101
	v_add_f16_e32 v63, v63, v52
	v_add_f16_e32 v60, v60, v69
	v_mul_f16_e32 v64, 0xbbf1, v59
	v_sub_f16_e32 v54, v57, v54
	v_add_f16_e32 v103, v103, v107
	v_add_f16_e32 v94, v94, v102
	;; [unrolled: 1-line block ×6, first 2 shown]
	v_fma_f16 v67, v60, s4, v64
	v_fma_f16 v64, v60, s4, -v64
	v_add_f16_e32 v49, v58, v49
	v_mul_f16_e32 v57, 0xb3a8, v54
	v_add_f16_e32 v95, v95, v103
	v_add_f16_e32 v90, v90, v94
	;; [unrolled: 1-line block ×6, first 2 shown]
	v_mul_f16_e32 v69, 0xbb7b, v59
	v_fma_f16 v58, v49, s11, v57
	v_fma_f16 v57, v49, s11, -v57
	v_sub_f16_e32 v51, v56, v51
	v_add_f16_e32 v91, v91, v95
	v_add_f16_e32 v86, v86, v90
	;; [unrolled: 1-line block ×5, first 2 shown]
	v_fma_f16 v85, v60, s6, v69
	v_fma_f16 v69, v60, s6, -v69
	v_add_f16_e32 v57, v57, v64
	v_mul_f16_e32 v64, 0x394e, v54
	v_add_f16_e32 v52, v55, v52
	v_mul_f16_e32 v55, 0x3b7b, v51
	v_sub_f16_e32 v40, v40, v50
	v_add_f16_e32 v87, v87, v91
	v_add_f16_e32 v80, v80, v86
	;; [unrolled: 1-line block ×4, first 2 shown]
	v_mul_f16_e32 v86, 0xb94e, v59
	v_mul_f16_e32 v88, 0xb3a8, v59
	v_add_f16_e32 v58, v58, v67
	v_fma_f16 v67, v49, s7, v64
	v_fma_f16 v64, v49, s7, -v64
	v_fma_f16 v56, v52, s6, v55
	v_fma_f16 v55, v52, s6, -v55
	v_add_f16_e32 v48, v53, v48
	v_mul_f16_e32 v50, 0x3770, v40
	v_sub_f16_e32 v7, v7, v36
	v_sub_f16_e32 v0, v0, v5
	v_pk_mul_f16 v5, v59, s19 op_sel_hi:[0,1]
	v_add_f16_e32 v82, v82, v87
	v_add_f16_e32 v85, v39, v85
	v_fma_f16 v87, v60, s7, v86
	v_fma_f16 v86, v60, s7, -v86
	v_fma_f16 v89, v60, s11, v88
	v_fma_f16 v88, v60, s11, -v88
	v_add_f16_e32 v64, v64, v69
	v_mul_f16_e32 v69, 0x3bf1, v54
	v_add_f16_e32 v55, v55, v57
	v_mul_f16_e32 v57, 0x3770, v51
	v_fma_f16 v53, v48, s10, v50
	v_fma_f16 v50, v48, s10, -v50
	v_add_f16_e32 v8, v8, v37
	v_mul_f16_e32 v36, 0xba95, v7
	v_add_f16_e32 v1, v1, v6
	v_pk_fma_f16 v6, v60, s16, v5 op_sel_hi:[0,1,1]
	v_pk_fma_f16 v5, v60, s16, v5 op_sel_hi:[0,1,1] neg_lo:[0,0,1] neg_hi:[0,0,1]
	v_add_f16_e32 v87, v39, v87
	v_add_f16_e32 v86, v39, v86
	;; [unrolled: 1-line block ×5, first 2 shown]
	v_fma_f16 v85, v49, s4, v69
	v_fma_f16 v69, v49, s4, -v69
	v_add_f16_e32 v56, v56, v58
	v_fma_f16 v58, v52, s10, v57
	v_fma_f16 v57, v52, s10, -v57
	v_add_f16_e32 v50, v50, v55
	v_mul_f16_e32 v55, 0xbbf1, v40
	v_fma_f16 v37, v8, s5, v36
	v_fma_f16 v36, v8, s5, -v36
	v_add_f16_sdwa v59, v39, v6 dst_sel:DWORD dst_unused:UNUSED_PAD src0_sel:DWORD src1_sel:WORD_1
	v_add_f16_e32 v6, v39, v6
	v_pk_add_f16 v5, v39, v5 op_sel_hi:[0,1]
	v_pk_mul_f16 v39, v54, s20 op_sel_hi:[0,1]
	v_add_f16_e32 v69, v69, v86
	v_mul_f16_e32 v86, 0x3770, v54
	v_add_f16_e32 v57, v57, v64
	v_mul_f16_e32 v64, 0xba95, v51
	v_add_f16_e32 v53, v53, v56
	v_fma_f16 v56, v48, s4, v55
	v_fma_f16 v55, v48, s4, -v55
	v_add_f16_e32 v36, v36, v50
	v_mul_f16_e32 v50, 0x33a8, v7
	v_pk_fma_f16 v54, v49, s17, v39 op_sel_hi:[0,1,1]
	v_pk_fma_f16 v39, v49, s17, v39 op_sel_hi:[0,1,1] neg_lo:[0,0,1] neg_hi:[0,0,1]
	v_add_f16_e32 v58, v58, v67
	v_fma_f16 v67, v52, s5, v64
	v_fma_f16 v64, v52, s5, -v64
	v_add_f16_e32 v55, v55, v57
	v_mul_f16_e32 v57, 0x33a8, v40
	v_add_f16_e32 v37, v37, v53
	v_fma_f16 v53, v8, s11, v50
	v_fma_f16 v50, v8, s11, -v50
	v_pk_add_f16 v5, v39, v5
	v_pk_mul_f16 v39, v51, s23 op_sel_hi:[0,1]
	v_add_f16_e32 v85, v85, v87
	v_fma_f16 v87, v49, s10, v86
	v_fma_f16 v86, v49, s10, -v86
	v_add_f16_e32 v64, v64, v69
	v_add_f16_e32 v56, v56, v58
	v_fma_f16 v58, v48, s11, v57
	v_fma_f16 v57, v48, s11, -v57
	v_add_f16_e32 v50, v50, v55
	v_mul_f16_e32 v55, 0x3770, v7
	v_pk_fma_f16 v49, v52, s18, v39 op_sel_hi:[0,1,1]
	v_pk_fma_f16 v39, v52, s18, v39 op_sel_hi:[0,1,1] neg_lo:[0,0,1] neg_hi:[0,0,1]
	v_add_f16_e32 v57, v57, v64
	v_add_f16_e32 v53, v53, v56
	v_fma_f16 v56, v8, s10, v55
	v_fma_f16 v55, v8, s10, -v55
	v_pk_add_f16 v5, v39, v5
	v_pk_mul_f16 v39, v40, s24 op_sel_hi:[0,1]
	v_mul_f16_e32 v64, 0x3a95, v40
	v_add_f16_e32 v55, v55, v57
	v_mul_f16_e32 v57, 0xbb7b, v7
	v_pk_fma_f16 v40, v48, s21, v39 op_sel_hi:[0,1,1]
	v_pk_fma_f16 v39, v48, s21, v39 op_sel_hi:[0,1,1] neg_lo:[0,0,1] neg_hi:[0,0,1]
	v_pk_mul_f16 v7, v7, s26 op_sel_hi:[0,1]
	v_add_f16_e32 v67, v67, v85
	v_add_f16_sdwa v59, v54, v59 dst_sel:DWORD dst_unused:UNUSED_PAD src0_sel:WORD_1 src1_sel:DWORD
	v_add_f16_e32 v6, v54, v6
	v_pk_add_f16 v5, v39, v5
	v_pk_fma_f16 v39, v8, s22, v7 op_sel_hi:[0,1,1]
	v_pk_fma_f16 v7, v8, s22, v7 op_sel_hi:[0,1,1] neg_lo:[0,0,1] neg_hi:[0,0,1]
	v_mul_f16_e32 v69, 0xb94e, v51
	v_add_f16_e32 v58, v58, v67
	v_add_f16_sdwa v51, v49, v59 dst_sel:DWORD dst_unused:UNUSED_PAD src0_sel:WORD_1 src1_sel:DWORD
	v_add_f16_e32 v6, v49, v6
	v_pk_add_f16 v5, v7, v5
	v_pk_mul_f16 v7, v0, s27 op_sel_hi:[0,1]
	v_add_f16_e32 v56, v56, v58
	v_fma_f16 v58, v8, s6, v57
	v_fma_f16 v57, v8, s6, -v57
	v_add_f16_sdwa v49, v40, v51 dst_sel:DWORD dst_unused:UNUSED_PAD src0_sel:WORD_1 src1_sel:DWORD
	v_add_f16_e32 v6, v40, v6
	v_pk_fma_f16 v8, v1, s25, v7 op_sel_hi:[0,1,1]
	v_pk_fma_f16 v7, v1, s25, v7 op_sel_hi:[0,1,1] neg_lo:[0,0,1] neg_hi:[0,0,1]
	v_add_f16_e32 v87, v87, v89
	v_add_f16_e32 v86, v86, v88
	v_fma_f16 v85, v52, s7, v69
	v_fma_f16 v69, v52, s7, -v69
	v_add_f16_sdwa v40, v39, v49 dst_sel:DWORD dst_unused:UNUSED_PAD src0_sel:WORD_1 src1_sel:DWORD
	v_add_f16_e32 v6, v39, v6
	v_pk_add_f16 v5, v7, v5
	v_mul_f16_e32 v7, 0xb94e, v0
	v_add_f16_e32 v85, v85, v87
	v_add_f16_e32 v69, v69, v86
	v_fma_f16 v67, v48, s5, v64
	v_fma_f16 v64, v48, s5, -v64
	v_add_f16_sdwa v39, v8, v40 dst_sel:DWORD dst_unused:UNUSED_PAD src0_sel:WORD_1 src1_sel:DWORD
	v_add_f16_e32 v6, v8, v6
	v_fma_f16 v8, v1, s7, v7
	v_fma_f16 v7, v1, s7, -v7
	v_add_f16_e32 v67, v67, v85
	v_add_f16_e32 v64, v64, v69
	;; [unrolled: 1-line block ×3, first 2 shown]
	v_mul_f16_e32 v36, 0x3a95, v0
	v_mul_f16_e32 v40, 0xbb7b, v0
	v_mul_f16_e32 v0, 0x3bf1, v0
	v_add_f16_e32 v58, v58, v67
	v_add_f16_e32 v57, v57, v64
	;; [unrolled: 1-line block ×3, first 2 shown]
	v_fma_f16 v37, v1, s5, v36
	v_fma_f16 v36, v1, s5, -v36
	v_fma_f16 v48, v1, s6, v40
	v_fma_f16 v40, v1, s6, -v40
	;; [unrolled: 2-line block ×3, first 2 shown]
	v_add_f16_e32 v37, v37, v53
	v_add_f16_e32 v36, v36, v50
	;; [unrolled: 1-line block ×6, first 2 shown]
	s_waitcnt lgkmcnt(0)
	; wave barrier
	s_waitcnt lgkmcnt(0)
	ds_write_b16 v96, v31
	ds_write_b16 v96, v66 offset:52
	ds_write_b16 v96, v70 offset:104
	;; [unrolled: 1-line block ×12, first 2 shown]
	ds_write_b16 v97, v63
	ds_write_b16 v97, v39 offset:52
	ds_write_b16 v97, v6 offset:104
	;; [unrolled: 1-line block ×11, first 2 shown]
	v_lshrrev_b32_e32 v6, 16, v5
	v_add_u32_e32 v1, v28, v30
	ds_write_b16 v97, v6 offset:624
	s_waitcnt lgkmcnt(0)
	; wave barrier
	s_waitcnt lgkmcnt(0)
	v_add_u32_e32 v0, v27, v33
	ds_read_u16 v36, v26 offset:2132
	ds_read_u16 v48, v26 offset:2236
	ds_read_u16 v52, v99
	ds_read_u16 v56, v1
	;; [unrolled: 1-line block ×3, first 2 shown]
	ds_read_u16 v31, v26 offset:676
	ds_read_u16 v39, v26 offset:780
	;; [unrolled: 1-line block ×11, first 2 shown]
	ds_read_u16 v49, v0
	ds_read_u16 v28, v98
	ds_read_u16 v37, v26 offset:1352
	ds_read_u16 v59, v26 offset:1196
	;; [unrolled: 1-line block ×4, first 2 shown]
	ds_read_u16 v29, v29
	ds_read_u16 v62, v26 offset:2548
                                        ; implicit-def: $vgpr7
                                        ; implicit-def: $vgpr8
	s_and_saveexec_b64 s[2:3], s[0:1]
	s_cbranch_execz .LBB0_17
; %bb.16:
	ds_read_u16 v6, v26 offset:1300
	ds_read_u16 v7, v26 offset:1976
	ds_read_u16 v5, v32
	ds_read_u16 v8, v26 offset:2652
	v_mov_b32_e32 v38, v24
.LBB0_17:
	s_or_b64 exec, exec, s[2:3]
	s_and_saveexec_b64 s[2:3], vcc
	s_cbranch_execz .LBB0_20
; %bb.18:
	v_mul_i32_i24_e32 v0, 3, v23
	v_mov_b32_e32 v1, 0
	v_lshlrev_b64 v[23:24], 2, v[0:1]
	v_mov_b32_e32 v32, s9
	v_add_co_u32_e32 v23, vcc, s8, v23
	v_addc_co_u32_e32 v24, vcc, v32, v24, vcc
	v_mul_i32_i24_e32 v0, 3, v22
	global_load_dwordx3 v[63:65], v[23:24], off offset:1344
	v_lshlrev_b64 v[22:23], 2, v[0:1]
	v_mul_i32_i24_e32 v0, 3, v21
	v_add_co_u32_e32 v22, vcc, s8, v22
	v_addc_co_u32_e32 v23, vcc, v32, v23, vcc
	global_load_dwordx3 v[22:24], v[22:23], off offset:1344
	v_lshlrev_b64 v[66:67], 2, v[0:1]
	v_mul_i32_i24_e32 v0, 3, v20
	v_add_co_u32_e32 v66, vcc, s8, v66
	v_addc_co_u32_e32 v67, vcc, v32, v67, vcc
	global_load_dwordx3 v[66:68], v[66:67], off offset:1344
	v_lshlrev_b64 v[20:21], 2, v[0:1]
	v_mul_i32_i24_e32 v0, 3, v25
	v_lshlrev_b64 v[25:26], 2, v[0:1]
	v_add_co_u32_e32 v20, vcc, s8, v20
	v_addc_co_u32_e32 v21, vcc, v32, v21, vcc
	v_add_co_u32_e32 v25, vcc, s8, v25
	global_load_dwordx3 v[69:71], v[20:21], off offset:1344
	v_addc_co_u32_e32 v26, vcc, v32, v26, vcc
	s_waitcnt vmcnt(3)
	v_lshrrev_b32_e32 v0, 16, v63
	v_lshrrev_b32_e32 v20, 16, v65
	s_waitcnt lgkmcnt(2)
	v_mul_f16_sdwa v21, v60, v64 dst_sel:DWORD dst_unused:UNUSED_PAD src0_sel:DWORD src1_sel:WORD_1
	v_mul_f16_e32 v32, v59, v63
	s_waitcnt lgkmcnt(0)
	v_mul_f16_e32 v73, v62, v65
	v_mul_f16_sdwa v74, v84, v64 dst_sel:DWORD dst_unused:UNUSED_PAD src0_sel:DWORD src1_sel:WORD_1
	v_fma_f16 v21, v84, v64, -v21
	v_fma_f16 v32, v79, v0, v32
	v_fma_f16 v73, v81, v20, v73
	v_fma_f16 v60, v60, v64, v74
	v_mul_f16_e32 v0, v59, v0
	v_mul_f16_e32 v20, v62, v20
	s_waitcnt vmcnt(2)
	v_lshrrev_b32_e32 v59, 16, v22
	v_lshrrev_b32_e32 v62, 16, v24
	v_mul_f16_sdwa v64, v57, v23 dst_sel:DWORD dst_unused:UNUSED_PAD src0_sel:DWORD src1_sel:WORD_1
	v_mul_f16_sdwa v80, v77, v23 dst_sel:DWORD dst_unused:UNUSED_PAD src0_sel:DWORD src1_sel:WORD_1
	v_mul_f16_e32 v74, v27, v22
	v_mul_f16_e32 v78, v58, v24
	v_fma_f16 v63, v79, v63, -v0
	v_fma_f16 v20, v81, v65, -v20
	;; [unrolled: 1-line block ×3, first 2 shown]
	v_fma_f16 v23, v57, v23, v80
	v_mul_f16_e32 v27, v27, v59
	v_mul_f16_e32 v57, v58, v62
	v_sub_f16_e32 v21, v76, v21
	v_sub_f16_e32 v73, v32, v73
	;; [unrolled: 1-line block ×3, first 2 shown]
	v_fma_f16 v65, v72, v59, v74
	v_fma_f16 v74, v75, v62, v78
	v_sub_f16_e32 v62, v63, v20
	v_fma_f16 v72, v72, v22, -v27
	v_fma_f16 v22, v75, v24, -v57
	global_load_dwordx3 v[57:59], v[25:26], off offset:1344
	v_sub_f16_e32 v0, v21, v73
	v_fma_f16 v28, v28, 2.0, -v60
	v_fma_f16 v32, v32, 2.0, -v73
	v_sub_f16_e32 v64, v61, v64
	v_add_f16_e32 v20, v60, v62
	v_sub_f16_e32 v26, v72, v22
	v_fma_f16 v76, v76, 2.0, -v21
	v_sub_f16_e32 v73, v65, v74
	v_sub_f16_e32 v74, v56, v23
	v_fma_f16 v23, v21, 2.0, -v0
	v_sub_f16_e32 v21, v28, v32
	v_fma_f16 v32, v61, 2.0, -v64
	v_fma_f16 v24, v60, 2.0, -v20
	;; [unrolled: 1-line block ×3, first 2 shown]
	v_sub_f16_e32 v72, v32, v60
	v_fma_f16 v56, v56, 2.0, -v74
	v_fma_f16 v60, v65, 2.0, -v73
	;; [unrolled: 1-line block ×3, first 2 shown]
	v_sub_f16_e32 v65, v56, v60
	s_waitcnt vmcnt(2)
	v_mul_f16_sdwa v60, v55, v67 dst_sel:DWORD dst_unused:UNUSED_PAD src0_sel:DWORD src1_sel:WORD_1
	v_sub_f16_e32 v27, v64, v73
	v_sub_f16_e32 v22, v76, v25
	v_fma_f16 v25, v28, 2.0, -v21
	v_add_f16_e32 v28, v74, v26
	v_fma_f16 v60, v46, v67, -v60
	v_fma_f16 v63, v64, 2.0, -v27
	v_fma_f16 v64, v74, 2.0, -v28
	v_sub_f16_e32 v74, v47, v60
	v_mul_f16_sdwa v60, v44, v66 dst_sel:DWORD dst_unused:UNUSED_PAD src0_sel:DWORD src1_sel:WORD_1
	v_fma_f16 v75, v53, v66, v60
	v_mul_u32_u24_e32 v60, 3, v18
	v_lshlrev_b32_e32 v60, 2, v60
	global_load_dwordx3 v[60:62], v60, s[8:9] offset:1344
	v_lshrrev_b32_e32 v73, 16, v68
	v_mul_f16_sdwa v53, v53, v66 dst_sel:DWORD dst_unused:UNUSED_PAD src0_sel:DWORD src1_sel:WORD_1
	v_fma_f16 v26, v76, 2.0, -v22
	v_mul_f16_e32 v76, v54, v68
	v_mul_f16_sdwa v46, v46, v67 dst_sel:DWORD dst_unused:UNUSED_PAD src0_sel:DWORD src1_sel:WORD_1
	v_fma_f16 v44, v44, v66, -v53
	v_mul_f16_e32 v53, v54, v73
	v_fma_f16 v76, v45, v73, v76
	v_fma_f16 v46, v55, v67, v46
	v_fma_f16 v45, v45, v68, -v53
	v_sub_f16_e32 v46, v52, v46
	v_sub_f16_e32 v45, v44, v45
	v_add_f16_e32 v53, v46, v45
	v_fma_f16 v44, v44, 2.0, -v45
	v_fma_f16 v45, v52, 2.0, -v46
	s_waitcnt vmcnt(2)
	v_mul_f16_sdwa v52, v51, v70 dst_sel:DWORD dst_unused:UNUSED_PAD src0_sel:DWORD src1_sel:WORD_1
	v_mul_f16_sdwa v55, v41, v69 dst_sel:DWORD dst_unused:UNUSED_PAD src0_sel:DWORD src1_sel:WORD_1
	;; [unrolled: 1-line block ×3, first 2 shown]
	v_fma_f16 v52, v43, v70, -v52
	v_fma_f16 v55, v50, v69, v55
	v_fma_f16 v66, v48, v71, v66
	v_mul_f16_sdwa v43, v43, v70 dst_sel:DWORD dst_unused:UNUSED_PAD src0_sel:DWORD src1_sel:WORD_1
	v_mul_f16_sdwa v50, v50, v69 dst_sel:DWORD dst_unused:UNUSED_PAD src0_sel:DWORD src1_sel:WORD_1
	;; [unrolled: 1-line block ×3, first 2 shown]
	v_sub_f16_e32 v52, v42, v52
	v_sub_f16_e32 v66, v55, v66
	v_fma_f16 v43, v51, v70, v43
	v_fma_f16 v41, v41, v69, -v50
	v_fma_f16 v35, v35, v71, -v48
	v_sub_f16_e32 v67, v52, v66
	v_sub_f16_e32 v43, v49, v43
	;; [unrolled: 1-line block ×3, first 2 shown]
	v_fma_f16 v68, v52, 2.0, -v67
	v_add_f16_e32 v48, v43, v35
	v_fma_f16 v42, v42, 2.0, -v52
	v_fma_f16 v35, v41, 2.0, -v35
	;; [unrolled: 1-line block ×5, first 2 shown]
	v_sub_f16_e32 v35, v42, v35
	v_sub_f16_e32 v43, v41, v43
	v_fma_f16 v42, v42, 2.0, -v35
	v_fma_f16 v41, v41, 2.0, -v43
	v_sub_f16_e32 v76, v75, v76
	v_fma_f16 v54, v46, 2.0, -v53
	v_fma_f16 v47, v47, 2.0, -v74
	s_waitcnt vmcnt(1)
	v_mul_f16_sdwa v49, v40, v58 dst_sel:DWORD dst_unused:UNUSED_PAD src0_sel:DWORD src1_sel:WORD_1
	v_mul_f16_sdwa v51, v13, v57 dst_sel:DWORD dst_unused:UNUSED_PAD src0_sel:DWORD src1_sel:WORD_1
	;; [unrolled: 1-line block ×3, first 2 shown]
	v_fma_f16 v49, v14, v58, -v49
	v_fma_f16 v51, v39, v57, v51
	v_fma_f16 v52, v36, v59, v52
	v_mul_f16_sdwa v14, v14, v58 dst_sel:DWORD dst_unused:UNUSED_PAD src0_sel:DWORD src1_sel:WORD_1
	v_mul_f16_sdwa v39, v39, v57 dst_sel:DWORD dst_unused:UNUSED_PAD src0_sel:DWORD src1_sel:WORD_1
	;; [unrolled: 1-line block ×3, first 2 shown]
	v_fma_f16 v14, v40, v58, v14
	v_fma_f16 v13, v13, v57, -v39
	v_fma_f16 v34, v34, v59, -v36
	v_sub_f16_e32 v49, v15, v49
	v_sub_f16_e32 v14, v29, v14
	;; [unrolled: 1-line block ×4, first 2 shown]
	v_add_f16_e32 v36, v14, v34
	v_fma_f16 v15, v15, 2.0, -v49
	v_fma_f16 v13, v13, 2.0, -v34
	;; [unrolled: 1-line block ×3, first 2 shown]
	v_sub_f16_e32 v34, v15, v13
	v_fma_f16 v13, v29, 2.0, -v14
	v_fma_f16 v14, v51, 2.0, -v52
	v_sub_f16_e32 v55, v49, v52
	v_sub_f16_e32 v29, v13, v14
	v_fma_f16 v66, v49, 2.0, -v55
	v_fma_f16 v49, v13, 2.0, -v29
	v_fma_f16 v40, v15, 2.0, -v34
	v_fma_f16 v46, v75, 2.0, -v76
	v_sub_f16_e32 v44, v47, v44
	v_sub_f16_e32 v46, v45, v46
	v_fma_f16 v47, v47, 2.0, -v44
	v_fma_f16 v45, v45, 2.0, -v46
	s_waitcnt vmcnt(0)
	v_mul_f16_sdwa v13, v37, v61 dst_sel:DWORD dst_unused:UNUSED_PAD src0_sel:DWORD src1_sel:WORD_1
	v_fma_f16 v13, v12, v61, -v13
	v_mul_f16_sdwa v12, v12, v61 dst_sel:DWORD dst_unused:UNUSED_PAD src0_sel:DWORD src1_sel:WORD_1
	v_fma_f16 v12, v37, v61, v12
	v_mul_f16_sdwa v14, v10, v60 dst_sel:DWORD dst_unused:UNUSED_PAD src0_sel:DWORD src1_sel:WORD_1
	v_mul_f16_sdwa v15, v11, v62 dst_sel:DWORD dst_unused:UNUSED_PAD src0_sel:DWORD src1_sel:WORD_1
	v_sub_f16_e32 v37, v30, v12
	v_mul_f16_sdwa v12, v31, v60 dst_sel:DWORD dst_unused:UNUSED_PAD src0_sel:DWORD src1_sel:WORD_1
	v_fma_f16 v14, v31, v60, v14
	v_fma_f16 v15, v33, v62, v15
	v_fma_f16 v10, v10, v60, -v12
	v_mul_f16_sdwa v12, v33, v62 dst_sel:DWORD dst_unused:UNUSED_PAD src0_sel:DWORD src1_sel:WORD_1
	v_sub_f16_e32 v13, v9, v13
	v_sub_f16_e32 v15, v14, v15
	v_fma_f16 v11, v11, v62, -v12
	v_sub_f16_e32 v51, v13, v15
	v_sub_f16_e32 v11, v10, v11
	v_fma_f16 v52, v13, 2.0, -v51
	v_add_f16_e32 v31, v37, v11
	v_fma_f16 v13, v9, 2.0, -v13
	v_fma_f16 v9, v10, 2.0, -v11
	v_mad_u64_u32 v[11:12], s[2:3], s12, v18, 0
	v_sub_f16_e32 v57, v13, v9
	v_fma_f16 v30, v30, 2.0, -v37
	v_mov_b32_e32 v9, v12
	v_mad_u64_u32 v[9:10], s[2:3], s13, v18, v[9:10]
	v_fma_f16 v14, v14, 2.0, -v15
	v_fma_f16 v33, v37, 2.0, -v31
	v_mov_b32_e32 v12, v9
	v_add_co_u32_e32 v9, vcc, s14, v16
	v_add_u32_e32 v16, 0x152, v18
	v_sub_f16_e32 v37, v30, v14
	v_fma_f16 v15, v13, 2.0, -v57
	v_mad_u64_u32 v[13:14], s[2:3], s12, v16, 0
	v_fma_f16 v30, v30, 2.0, -v37
	v_mov_b32_e32 v10, s15
	v_addc_co_u32_e32 v10, vcc, v10, v17, vcc
	v_pack_b32_f16 v17, v15, v30
	v_mad_u64_u32 v[14:15], s[2:3], s13, v16, v[14:15]
	v_add_u32_e32 v30, 0x2a4, v18
	v_lshlrev_b64 v[11:12], 2, v[11:12]
	v_mad_u64_u32 v[15:16], s[2:3], s12, v30, 0
	v_add_co_u32_e32 v11, vcc, v9, v11
	v_addc_co_u32_e32 v12, vcc, v10, v12, vcc
	global_store_dword v[11:12], v17, off
	v_lshlrev_b64 v[11:12], 2, v[13:14]
	v_mov_b32_e32 v13, v16
	v_mad_u64_u32 v[13:14], s[2:3], s13, v30, v[13:14]
	v_add_co_u32_e32 v11, vcc, v9, v11
	v_addc_co_u32_e32 v12, vcc, v10, v12, vcc
	v_pack_b32_f16 v14, v52, v33
	v_mov_b32_e32 v16, v13
	global_store_dword v[11:12], v14, off
	v_lshlrev_b64 v[11:12], 2, v[15:16]
	v_add_u32_e32 v15, 0x3f6, v18
	v_mad_u64_u32 v[13:14], s[2:3], s12, v15, 0
	v_add_co_u32_e32 v11, vcc, v9, v11
	v_addc_co_u32_e32 v12, vcc, v10, v12, vcc
	v_pack_b32_f16 v16, v57, v37
	global_store_dword v[11:12], v16, off
	v_mov_b32_e32 v11, v14
	v_mad_u64_u32 v[11:12], s[2:3], s13, v15, v[11:12]
	v_mad_u64_u32 v[15:16], s[2:3], s12, v19, 0
	v_mov_b32_e32 v14, v11
	v_lshlrev_b64 v[11:12], 2, v[13:14]
	v_mov_b32_e32 v13, v16
	v_mad_u64_u32 v[13:14], s[4:5], s13, v19, v[13:14]
	v_add_co_u32_e32 v11, vcc, v9, v11
	v_addc_co_u32_e32 v12, vcc, v10, v12, vcc
	v_pack_b32_f16 v14, v51, v31
	v_mov_b32_e32 v16, v13
	global_store_dword v[11:12], v14, off
	v_lshlrev_b64 v[11:12], 2, v[15:16]
	v_add_u32_e32 v15, 0x186, v18
	v_mad_u64_u32 v[13:14], s[4:5], s12, v15, 0
	v_add_u32_e32 v19, 0x2d8, v18
	v_add_co_u32_e32 v11, vcc, v9, v11
	v_mad_u64_u32 v[14:15], s[4:5], s13, v15, v[14:15]
	v_mad_u64_u32 v[15:16], s[4:5], s12, v19, 0
	v_addc_co_u32_e32 v12, vcc, v10, v12, vcc
	v_pack_b32_f16 v17, v40, v49
	global_store_dword v[11:12], v17, off
	v_lshlrev_b64 v[11:12], 2, v[13:14]
	v_mov_b32_e32 v13, v16
	v_mad_u64_u32 v[13:14], s[4:5], s13, v19, v[13:14]
	v_add_co_u32_e32 v11, vcc, v9, v11
	v_addc_co_u32_e32 v12, vcc, v10, v12, vcc
	v_pack_b32_f16 v14, v66, v39
	v_mov_b32_e32 v16, v13
	global_store_dword v[11:12], v14, off
	v_lshlrev_b64 v[11:12], 2, v[15:16]
	v_add_u32_e32 v15, 0x42a, v18
	v_mad_u64_u32 v[13:14], s[4:5], s12, v15, 0
	v_add_u32_e32 v19, 0x68, v18
	v_add_co_u32_e32 v11, vcc, v9, v11
	v_mad_u64_u32 v[14:15], s[4:5], s13, v15, v[14:15]
	v_mad_u64_u32 v[15:16], s[4:5], s12, v19, 0
	v_addc_co_u32_e32 v12, vcc, v10, v12, vcc
	v_pack_b32_f16 v17, v34, v29
	global_store_dword v[11:12], v17, off
	;; [unrolled: 18-line block ×4, first 2 shown]
	v_lshlrev_b64 v[11:12], 2, v[13:14]
	v_mov_b32_e32 v13, v16
	v_mad_u64_u32 v[13:14], s[4:5], s13, v19, v[13:14]
	v_add_co_u32_e32 v11, vcc, v9, v11
	v_addc_co_u32_e32 v12, vcc, v10, v12, vcc
	v_pack_b32_f16 v14, v67, v48
	v_mov_b32_e32 v16, v13
	global_store_dword v[11:12], v14, off
	v_lshlrev_b64 v[11:12], 2, v[15:16]
	v_add_u32_e32 v15, 0x1ee, v18
	v_mad_u64_u32 v[13:14], s[4:5], s12, v15, 0
	v_or_b32_e32 v19, 0x340, v18
	v_add_co_u32_e32 v11, vcc, v9, v11
	v_mad_u64_u32 v[14:15], s[4:5], s13, v15, v[14:15]
	v_mad_u64_u32 v[15:16], s[4:5], s12, v19, 0
	v_addc_co_u32_e32 v12, vcc, v10, v12, vcc
	v_pack_b32_f16 v17, v47, v45
	global_store_dword v[11:12], v17, off
	v_lshlrev_b64 v[11:12], 2, v[13:14]
	v_mov_b32_e32 v13, v16
	v_mad_u64_u32 v[13:14], s[4:5], s13, v19, v[13:14]
	v_sub_f16_e32 v77, v74, v76
	v_fma_f16 v78, v74, 2.0, -v77
	v_add_co_u32_e32 v11, vcc, v9, v11
	v_addc_co_u32_e32 v12, vcc, v10, v12, vcc
	v_pack_b32_f16 v14, v78, v54
	v_mov_b32_e32 v16, v13
	global_store_dword v[11:12], v14, off
	v_lshlrev_b64 v[11:12], 2, v[15:16]
	v_add_u32_e32 v15, 0x492, v18
	v_mad_u64_u32 v[13:14], s[4:5], s12, v15, 0
	v_add_u32_e32 v16, 0xd0, v18
	s_mov_b32 s3, 0x60f25deb
	v_mul_hi_u32 v19, v16, s3
	v_mad_u64_u32 v[14:15], s[4:5], s13, v15, v[14:15]
	s_movk_i32 s2, 0x3f6
	v_lshrrev_b32_e32 v15, 7, v19
	v_mad_u32_u24 v19, v15, s2, v16
	v_mad_u64_u32 v[15:16], s[4:5], s12, v19, 0
	v_add_co_u32_e32 v11, vcc, v9, v11
	v_addc_co_u32_e32 v12, vcc, v10, v12, vcc
	v_pack_b32_f16 v17, v44, v46
	global_store_dword v[11:12], v17, off
	v_lshlrev_b64 v[11:12], 2, v[13:14]
	v_mov_b32_e32 v13, v16
	v_mad_u64_u32 v[13:14], s[4:5], s13, v19, v[13:14]
	v_add_co_u32_e32 v11, vcc, v9, v11
	v_addc_co_u32_e32 v12, vcc, v10, v12, vcc
	v_pack_b32_f16 v14, v77, v53
	v_mov_b32_e32 v16, v13
	global_store_dword v[11:12], v14, off
	v_lshlrev_b64 v[11:12], 2, v[15:16]
	v_add_u32_e32 v15, 0x152, v19
	v_mad_u64_u32 v[13:14], s[4:5], s12, v15, 0
	v_add_u32_e32 v29, 0x2a4, v19
	v_fma_f16 v32, v32, 2.0, -v72
	v_mad_u64_u32 v[14:15], s[4:5], s13, v15, v[14:15]
	v_mad_u64_u32 v[15:16], s[4:5], s12, v29, 0
	v_fma_f16 v56, v56, 2.0, -v65
	v_add_co_u32_e32 v11, vcc, v9, v11
	v_addc_co_u32_e32 v12, vcc, v10, v12, vcc
	v_pack_b32_f16 v17, v32, v56
	global_store_dword v[11:12], v17, off
	v_lshlrev_b64 v[11:12], 2, v[13:14]
	v_mov_b32_e32 v13, v16
	v_mad_u64_u32 v[13:14], s[4:5], s13, v29, v[13:14]
	v_add_co_u32_e32 v11, vcc, v9, v11
	v_addc_co_u32_e32 v12, vcc, v10, v12, vcc
	v_pack_b32_f16 v14, v63, v64
	v_mov_b32_e32 v16, v13
	global_store_dword v[11:12], v14, off
	v_lshlrev_b64 v[11:12], 2, v[15:16]
	v_add_u32_e32 v15, 0x3f6, v19
	v_mad_u64_u32 v[13:14], s[4:5], s12, v15, 0
	v_add_co_u32_e32 v11, vcc, v9, v11
	v_mad_u64_u32 v[14:15], s[4:5], s13, v15, v[14:15]
	v_add_u32_e32 v15, 0x104, v18
	v_mul_hi_u32 v17, v15, s3
	v_addc_co_u32_e32 v12, vcc, v10, v12, vcc
	v_pack_b32_f16 v16, v72, v65
	global_store_dword v[11:12], v16, off
	v_lshlrev_b64 v[11:12], 2, v[13:14]
	v_lshrrev_b32_e32 v13, 7, v17
	v_mad_u32_u24 v17, v13, s2, v15
	v_mad_u64_u32 v[13:14], s[2:3], s12, v17, 0
	v_pack_b32_f16 v19, v27, v28
	v_add_u32_e32 v27, 0x152, v17
	v_mad_u64_u32 v[14:15], s[2:3], s13, v17, v[14:15]
	v_mad_u64_u32 v[15:16], s[2:3], s12, v27, 0
	v_add_co_u32_e32 v11, vcc, v9, v11
	v_addc_co_u32_e32 v12, vcc, v10, v12, vcc
	global_store_dword v[11:12], v19, off
	v_lshlrev_b64 v[11:12], 2, v[13:14]
	v_mov_b32_e32 v13, v16
	v_mad_u64_u32 v[13:14], s[2:3], s13, v27, v[13:14]
	v_add_co_u32_e32 v11, vcc, v9, v11
	v_addc_co_u32_e32 v12, vcc, v10, v12, vcc
	v_pack_b32_f16 v14, v26, v25
	v_mov_b32_e32 v16, v13
	global_store_dword v[11:12], v14, off
	v_lshlrev_b64 v[11:12], 2, v[15:16]
	v_add_u32_e32 v15, 0x2a4, v17
	v_mad_u64_u32 v[13:14], s[2:3], s12, v15, 0
	v_add_u32_e32 v17, 0x3f6, v17
	v_add_co_u32_e32 v11, vcc, v9, v11
	v_mad_u64_u32 v[14:15], s[2:3], s13, v15, v[14:15]
	v_mad_u64_u32 v[15:16], s[2:3], s12, v17, 0
	v_addc_co_u32_e32 v12, vcc, v10, v12, vcc
	v_pack_b32_f16 v19, v23, v24
	global_store_dword v[11:12], v19, off
	v_lshlrev_b64 v[11:12], 2, v[13:14]
	v_mov_b32_e32 v13, v16
	v_mad_u64_u32 v[13:14], s[2:3], s13, v17, v[13:14]
	v_add_co_u32_e32 v11, vcc, v9, v11
	v_addc_co_u32_e32 v12, vcc, v10, v12, vcc
	v_pack_b32_f16 v14, v22, v21
	v_mov_b32_e32 v16, v13
	global_store_dword v[11:12], v14, off
	v_lshlrev_b64 v[11:12], 2, v[15:16]
	v_pack_b32_f16 v0, v0, v20
	v_add_co_u32_e32 v11, vcc, v9, v11
	v_addc_co_u32_e32 v12, vcc, v10, v12, vcc
	global_store_dword v[11:12], v0, off
	s_and_b64 exec, exec, s[0:1]
	s_cbranch_execz .LBB0_20
; %bb.19:
	v_mul_i32_i24_e32 v0, 3, v38
	v_lshlrev_b64 v[0:1], 2, v[0:1]
	v_mov_b32_e32 v11, s9
	v_add_co_u32_e32 v0, vcc, s8, v0
	v_addc_co_u32_e32 v1, vcc, v11, v1, vcc
	global_load_dwordx3 v[11:13], v[0:1], off offset:1344
	v_add_u32_e32 v20, 0x138, v18
	v_mad_u64_u32 v[0:1], s[0:1], s12, v20, 0
	v_add_u32_e32 v22, 0x28a, v18
	v_add_u32_e32 v23, 0x3dc, v18
	v_mad_u64_u32 v[14:15], s[0:1], s12, v22, 0
	v_mad_u64_u32 v[16:17], s[0:1], s12, v23, 0
	v_add_u32_e32 v24, 0x52e, v18
	v_mad_u64_u32 v[18:19], s[0:1], s12, v24, 0
	v_mad_u64_u32 v[20:21], s[0:1], s13, v20, v[1:2]
	;; [unrolled: 1-line block ×4, first 2 shown]
	v_mov_b32_e32 v1, v20
	v_lshlrev_b64 v[0:1], 2, v[0:1]
	v_mad_u64_u32 v[23:24], s[0:1], s13, v24, v[19:20]
	v_mov_b32_e32 v15, v21
	v_lshlrev_b64 v[14:15], 2, v[14:15]
	v_add_co_u32_e32 v0, vcc, v9, v0
	v_mov_b32_e32 v17, v22
	v_addc_co_u32_e32 v1, vcc, v10, v1, vcc
	v_lshlrev_b64 v[16:17], 2, v[16:17]
	v_add_co_u32_e32 v14, vcc, v9, v14
	v_mov_b32_e32 v19, v23
	v_addc_co_u32_e32 v15, vcc, v10, v15, vcc
	v_lshlrev_b64 v[18:19], 2, v[18:19]
	v_add_co_u32_e32 v16, vcc, v9, v16
	v_addc_co_u32_e32 v17, vcc, v10, v17, vcc
	v_lshrrev_b32_e32 v25, 16, v2
	v_add_co_u32_e32 v9, vcc, v9, v18
	v_addc_co_u32_e32 v10, vcc, v10, v19, vcc
	s_waitcnt vmcnt(0)
	v_mul_f16_sdwa v18, v6, v11 dst_sel:DWORD dst_unused:UNUSED_PAD src0_sel:DWORD src1_sel:WORD_1
	v_mul_f16_sdwa v19, v25, v11 dst_sel:DWORD dst_unused:UNUSED_PAD src0_sel:DWORD src1_sel:WORD_1
	;; [unrolled: 1-line block ×6, first 2 shown]
	v_fma_f16 v18, v25, v11, -v18
	v_fma_f16 v6, v6, v11, v19
	v_fma_f16 v3, v3, v12, -v20
	v_fma_f16 v7, v7, v12, v21
	;; [unrolled: 2-line block ×3, first 2 shown]
	v_sub_f16_e32 v3, v2, v3
	v_sub_f16_e32 v7, v5, v7
	;; [unrolled: 1-line block ×4, first 2 shown]
	v_fma_f16 v2, v2, 2.0, -v3
	v_fma_f16 v5, v5, 2.0, -v7
	;; [unrolled: 1-line block ×4, first 2 shown]
	v_sub_f16_e32 v11, v2, v11
	v_sub_f16_e32 v6, v5, v6
	v_sub_f16_e32 v8, v3, v8
	v_add_f16_e32 v4, v7, v4
	v_fma_f16 v2, v2, 2.0, -v11
	v_fma_f16 v5, v5, 2.0, -v6
	;; [unrolled: 1-line block ×4, first 2 shown]
	v_pack_b32_f16 v2, v2, v5
	v_pack_b32_f16 v4, v8, v4
	v_pack_b32_f16 v3, v3, v7
	v_pack_b32_f16 v6, v11, v6
	global_store_dword v[0:1], v2, off
	global_store_dword v[14:15], v3, off
	;; [unrolled: 1-line block ×4, first 2 shown]
.LBB0_20:
	s_endpgm
	.section	.rodata,"a",@progbits
	.p2align	6, 0x0
	.amdhsa_kernel fft_rtc_fwd_len1352_factors_2_13_13_4_wgs_52_tpt_52_halfLds_half_ip_CI_sbrr_dirReg
		.amdhsa_group_segment_fixed_size 0
		.amdhsa_private_segment_fixed_size 0
		.amdhsa_kernarg_size 88
		.amdhsa_user_sgpr_count 6
		.amdhsa_user_sgpr_private_segment_buffer 1
		.amdhsa_user_sgpr_dispatch_ptr 0
		.amdhsa_user_sgpr_queue_ptr 0
		.amdhsa_user_sgpr_kernarg_segment_ptr 1
		.amdhsa_user_sgpr_dispatch_id 0
		.amdhsa_user_sgpr_flat_scratch_init 0
		.amdhsa_user_sgpr_private_segment_size 0
		.amdhsa_uses_dynamic_stack 0
		.amdhsa_system_sgpr_private_segment_wavefront_offset 0
		.amdhsa_system_sgpr_workgroup_id_x 1
		.amdhsa_system_sgpr_workgroup_id_y 0
		.amdhsa_system_sgpr_workgroup_id_z 0
		.amdhsa_system_sgpr_workgroup_info 0
		.amdhsa_system_vgpr_workitem_id 0
		.amdhsa_next_free_vgpr 109
		.amdhsa_next_free_sgpr 29
		.amdhsa_reserve_vcc 1
		.amdhsa_reserve_flat_scratch 0
		.amdhsa_float_round_mode_32 0
		.amdhsa_float_round_mode_16_64 0
		.amdhsa_float_denorm_mode_32 3
		.amdhsa_float_denorm_mode_16_64 3
		.amdhsa_dx10_clamp 1
		.amdhsa_ieee_mode 1
		.amdhsa_fp16_overflow 0
		.amdhsa_exception_fp_ieee_invalid_op 0
		.amdhsa_exception_fp_denorm_src 0
		.amdhsa_exception_fp_ieee_div_zero 0
		.amdhsa_exception_fp_ieee_overflow 0
		.amdhsa_exception_fp_ieee_underflow 0
		.amdhsa_exception_fp_ieee_inexact 0
		.amdhsa_exception_int_div_zero 0
	.end_amdhsa_kernel
	.text
.Lfunc_end0:
	.size	fft_rtc_fwd_len1352_factors_2_13_13_4_wgs_52_tpt_52_halfLds_half_ip_CI_sbrr_dirReg, .Lfunc_end0-fft_rtc_fwd_len1352_factors_2_13_13_4_wgs_52_tpt_52_halfLds_half_ip_CI_sbrr_dirReg
                                        ; -- End function
	.section	.AMDGPU.csdata,"",@progbits
; Kernel info:
; codeLenInByte = 21344
; NumSgprs: 33
; NumVgprs: 109
; ScratchSize: 0
; MemoryBound: 0
; FloatMode: 240
; IeeeMode: 1
; LDSByteSize: 0 bytes/workgroup (compile time only)
; SGPRBlocks: 4
; VGPRBlocks: 27
; NumSGPRsForWavesPerEU: 33
; NumVGPRsForWavesPerEU: 109
; Occupancy: 2
; WaveLimiterHint : 1
; COMPUTE_PGM_RSRC2:SCRATCH_EN: 0
; COMPUTE_PGM_RSRC2:USER_SGPR: 6
; COMPUTE_PGM_RSRC2:TRAP_HANDLER: 0
; COMPUTE_PGM_RSRC2:TGID_X_EN: 1
; COMPUTE_PGM_RSRC2:TGID_Y_EN: 0
; COMPUTE_PGM_RSRC2:TGID_Z_EN: 0
; COMPUTE_PGM_RSRC2:TIDIG_COMP_CNT: 0
	.type	__hip_cuid_28d5bc9145debc75,@object ; @__hip_cuid_28d5bc9145debc75
	.section	.bss,"aw",@nobits
	.globl	__hip_cuid_28d5bc9145debc75
__hip_cuid_28d5bc9145debc75:
	.byte	0                               ; 0x0
	.size	__hip_cuid_28d5bc9145debc75, 1

	.ident	"AMD clang version 19.0.0git (https://github.com/RadeonOpenCompute/llvm-project roc-6.4.0 25133 c7fe45cf4b819c5991fe208aaa96edf142730f1d)"
	.section	".note.GNU-stack","",@progbits
	.addrsig
	.addrsig_sym __hip_cuid_28d5bc9145debc75
	.amdgpu_metadata
---
amdhsa.kernels:
  - .args:
      - .actual_access:  read_only
        .address_space:  global
        .offset:         0
        .size:           8
        .value_kind:     global_buffer
      - .offset:         8
        .size:           8
        .value_kind:     by_value
      - .actual_access:  read_only
        .address_space:  global
        .offset:         16
        .size:           8
        .value_kind:     global_buffer
      - .actual_access:  read_only
        .address_space:  global
        .offset:         24
        .size:           8
        .value_kind:     global_buffer
      - .offset:         32
        .size:           8
        .value_kind:     by_value
      - .actual_access:  read_only
        .address_space:  global
        .offset:         40
        .size:           8
        .value_kind:     global_buffer
      - .actual_access:  read_only
        .address_space:  global
        .offset:         48
        .size:           8
        .value_kind:     global_buffer
      - .offset:         56
        .size:           4
        .value_kind:     by_value
      - .actual_access:  read_only
        .address_space:  global
        .offset:         64
        .size:           8
        .value_kind:     global_buffer
      - .actual_access:  read_only
        .address_space:  global
        .offset:         72
        .size:           8
        .value_kind:     global_buffer
      - .address_space:  global
        .offset:         80
        .size:           8
        .value_kind:     global_buffer
    .group_segment_fixed_size: 0
    .kernarg_segment_align: 8
    .kernarg_segment_size: 88
    .language:       OpenCL C
    .language_version:
      - 2
      - 0
    .max_flat_workgroup_size: 52
    .name:           fft_rtc_fwd_len1352_factors_2_13_13_4_wgs_52_tpt_52_halfLds_half_ip_CI_sbrr_dirReg
    .private_segment_fixed_size: 0
    .sgpr_count:     33
    .sgpr_spill_count: 0
    .symbol:         fft_rtc_fwd_len1352_factors_2_13_13_4_wgs_52_tpt_52_halfLds_half_ip_CI_sbrr_dirReg.kd
    .uniform_work_group_size: 1
    .uses_dynamic_stack: false
    .vgpr_count:     109
    .vgpr_spill_count: 0
    .wavefront_size: 64
amdhsa.target:   amdgcn-amd-amdhsa--gfx906
amdhsa.version:
  - 1
  - 2
...

	.end_amdgpu_metadata
